;; amdgpu-corpus repo=pytorch/pytorch kind=compiled arch=gfx906 opt=O3
	.amdgcn_target "amdgcn-amd-amdhsa--gfx906"
	.amdhsa_code_object_version 6
	.section	.text._ZN2at6native19tril_indices_kernelIiEEvPT_lllll,"axG",@progbits,_ZN2at6native19tril_indices_kernelIiEEvPT_lllll,comdat
	.protected	_ZN2at6native19tril_indices_kernelIiEEvPT_lllll ; -- Begin function _ZN2at6native19tril_indices_kernelIiEEvPT_lllll
	.globl	_ZN2at6native19tril_indices_kernelIiEEvPT_lllll
	.p2align	8
	.type	_ZN2at6native19tril_indices_kernelIiEEvPT_lllll,@function
_ZN2at6native19tril_indices_kernelIiEEvPT_lllll: ; @_ZN2at6native19tril_indices_kernelIiEEvPT_lllll
; %bb.0:
	s_load_dword s7, s[4:5], 0x3c
	s_load_dwordx4 s[0:3], s[4:5], 0x20
	v_mov_b32_e32 v1, 0
	v_mov_b32_e32 v2, s6
	s_waitcnt lgkmcnt(0)
	s_and_b32 s7, s7, 0xffff
	v_mad_u64_u32 v[0:1], s[6:7], s7, v2, v[0:1]
	v_cmp_gt_i64_e32 vcc, s[2:3], v[0:1]
	s_and_saveexec_b64 s[6:7], vcc
	s_cbranch_execz .LBB0_16
; %bb.1:
	s_load_dwordx8 s[8:15], s[4:5], 0x0
	v_cmp_le_i64_e32 vcc, s[0:1], v[0:1]
                                        ; implicit-def: $vgpr4_vgpr5
                                        ; implicit-def: $vgpr2_vgpr3
	s_and_saveexec_b64 s[4:5], vcc
	s_xor_b64 s[4:5], exec, s[4:5]
	s_cbranch_execz .LBB0_7
; %bb.2:
	v_mov_b32_e32 v2, s1
	v_subrev_co_u32_e32 v4, vcc, s0, v0
	v_subb_co_u32_e32 v5, vcc, v1, v2, vcc
	s_waitcnt lgkmcnt(0)
	v_or_b32_e32 v3, s15, v5
	v_mov_b32_e32 v2, 0
	v_cmp_ne_u64_e32 vcc, 0, v[2:3]
                                        ; implicit-def: $vgpr2_vgpr3
	s_and_saveexec_b64 s[0:1], vcc
	s_xor_b64 s[6:7], exec, s[0:1]
	s_cbranch_execz .LBB0_4
; %bb.3:
	s_ashr_i32 s16, s15, 31
	s_add_u32 s0, s14, s16
	s_mov_b32 s17, s16
	s_addc_u32 s1, s15, s16
	s_xor_b64 s[18:19], s[0:1], s[16:17]
	v_cvt_f32_u32_e32 v2, s18
	v_cvt_f32_u32_e32 v3, s19
	s_sub_u32 s11, 0, s18
	s_subb_u32 s15, 0, s19
	v_ashrrev_i32_e32 v7, 31, v5
	v_madmk_f32 v2, v3, 0x4f800000, v2
	v_rcp_f32_e32 v2, v2
	v_mul_f32_e32 v2, 0x5f7ffffc, v2
	v_mul_f32_e32 v3, 0x2f800000, v2
	v_trunc_f32_e32 v3, v3
	v_madmk_f32 v2, v3, 0xcf800000, v2
	v_cvt_u32_f32_e32 v3, v3
	v_cvt_u32_f32_e32 v2, v2
	v_readfirstlane_b32 s17, v3
	v_readfirstlane_b32 s0, v2
	s_mul_i32 s1, s11, s17
	s_mul_hi_u32 s21, s11, s0
	s_mul_i32 s20, s15, s0
	s_add_i32 s1, s21, s1
	s_add_i32 s1, s1, s20
	s_mul_i32 s22, s11, s0
	s_mul_i32 s21, s0, s1
	s_mul_hi_u32 s23, s0, s22
	s_mul_hi_u32 s20, s0, s1
	s_add_u32 s21, s23, s21
	s_addc_u32 s20, 0, s20
	s_mul_hi_u32 s24, s17, s22
	s_mul_i32 s22, s17, s22
	s_add_u32 s21, s21, s22
	s_mul_hi_u32 s23, s17, s1
	s_addc_u32 s20, s20, s24
	s_addc_u32 s21, s23, 0
	s_mul_i32 s1, s17, s1
	s_add_u32 s1, s20, s1
	s_addc_u32 s20, 0, s21
	s_add_u32 s21, s0, s1
	s_cselect_b64 s[0:1], -1, 0
	s_cmp_lg_u64 s[0:1], 0
	s_addc_u32 s17, s17, s20
	s_mul_i32 s0, s11, s17
	s_mul_hi_u32 s1, s11, s21
	s_add_i32 s0, s1, s0
	s_mul_i32 s15, s15, s21
	s_add_i32 s0, s0, s15
	s_mul_i32 s11, s11, s21
	s_mul_hi_u32 s15, s17, s11
	s_mul_i32 s20, s17, s11
	s_mul_i32 s23, s21, s0
	s_mul_hi_u32 s11, s21, s11
	s_mul_hi_u32 s22, s21, s0
	s_add_u32 s11, s11, s23
	s_addc_u32 s22, 0, s22
	s_add_u32 s11, s11, s20
	s_mul_hi_u32 s1, s17, s0
	s_addc_u32 s11, s22, s15
	s_addc_u32 s1, s1, 0
	s_mul_i32 s0, s17, s0
	s_add_u32 s0, s11, s0
	s_addc_u32 s11, 0, s1
	s_add_u32 s15, s21, s0
	s_cselect_b64 s[0:1], -1, 0
	s_cmp_lg_u64 s[0:1], 0
	v_add_co_u32_e32 v2, vcc, v4, v7
	s_addc_u32 s11, s17, s11
	v_xor_b32_e32 v8, v2, v7
	v_mad_u64_u32 v[2:3], s[0:1], v8, s11, 0
	v_mul_hi_u32 v6, v8, s15
	v_addc_co_u32_e32 v5, vcc, v5, v7, vcc
	v_xor_b32_e32 v9, v5, v7
	v_add_co_u32_e32 v10, vcc, v6, v2
	v_addc_co_u32_e32 v11, vcc, 0, v3, vcc
	v_mad_u64_u32 v[2:3], s[0:1], v9, s15, 0
	v_mad_u64_u32 v[5:6], s[0:1], v9, s11, 0
	v_add_co_u32_e32 v2, vcc, v10, v2
	v_addc_co_u32_e32 v2, vcc, v11, v3, vcc
	v_addc_co_u32_e32 v3, vcc, 0, v6, vcc
	v_add_co_u32_e32 v5, vcc, v2, v5
	v_addc_co_u32_e32 v6, vcc, 0, v3, vcc
	v_mul_lo_u32 v10, s19, v5
	v_mul_lo_u32 v11, s18, v6
	v_mad_u64_u32 v[2:3], s[0:1], s18, v5, 0
	v_add3_u32 v3, v3, v11, v10
	v_sub_u32_e32 v10, v9, v3
	v_mov_b32_e32 v11, s19
	v_sub_co_u32_e32 v2, vcc, v8, v2
	v_subb_co_u32_e64 v8, s[0:1], v10, v11, vcc
	v_subrev_co_u32_e64 v10, s[0:1], s18, v2
	v_subbrev_co_u32_e64 v8, s[0:1], 0, v8, s[0:1]
	v_cmp_le_u32_e64 s[0:1], s19, v8
	v_cndmask_b32_e64 v11, 0, -1, s[0:1]
	v_cmp_le_u32_e64 s[0:1], s18, v10
	v_cndmask_b32_e64 v10, 0, -1, s[0:1]
	v_cmp_eq_u32_e64 s[0:1], s19, v8
	v_cndmask_b32_e64 v8, v11, v10, s[0:1]
	v_add_co_u32_e64 v10, s[0:1], 2, v5
	v_subb_co_u32_e32 v3, vcc, v9, v3, vcc
	v_addc_co_u32_e64 v11, s[0:1], 0, v6, s[0:1]
	v_cmp_le_u32_e32 vcc, s19, v3
	v_add_co_u32_e64 v12, s[0:1], 1, v5
	v_cndmask_b32_e64 v9, 0, -1, vcc
	v_cmp_le_u32_e32 vcc, s18, v2
	v_addc_co_u32_e64 v13, s[0:1], 0, v6, s[0:1]
	v_cndmask_b32_e64 v2, 0, -1, vcc
	v_cmp_eq_u32_e32 vcc, s19, v3
	v_cmp_ne_u32_e64 s[0:1], 0, v8
	v_cndmask_b32_e32 v2, v9, v2, vcc
	v_cndmask_b32_e64 v8, v13, v11, s[0:1]
	v_cmp_ne_u32_e32 vcc, 0, v2
	v_cndmask_b32_e64 v3, v12, v10, s[0:1]
	v_cndmask_b32_e32 v2, v6, v8, vcc
	v_cndmask_b32_e32 v3, v5, v3, vcc
	v_xor_b32_e32 v5, s16, v7
	v_xor_b32_e32 v6, v2, v5
	;; [unrolled: 1-line block ×3, first 2 shown]
	v_sub_co_u32_e32 v2, vcc, v2, v5
	v_subb_co_u32_e32 v3, vcc, v6, v5, vcc
.LBB0_4:
	s_andn2_saveexec_b64 s[0:1], s[6:7]
	s_cbranch_execz .LBB0_6
; %bb.5:
	v_cvt_f32_u32_e32 v2, s14
	s_sub_i32 s6, 0, s14
	v_rcp_iflag_f32_e32 v2, v2
	v_mul_f32_e32 v2, 0x4f7ffffe, v2
	v_cvt_u32_f32_e32 v2, v2
	v_mul_lo_u32 v3, s6, v2
	v_mul_hi_u32 v3, v2, v3
	v_add_u32_e32 v2, v2, v3
	v_mul_hi_u32 v2, v4, v2
	v_mul_lo_u32 v3, v2, s14
	v_add_u32_e32 v5, 1, v2
	v_sub_u32_e32 v3, v4, v3
	v_subrev_u32_e32 v6, s14, v3
	v_cmp_le_u32_e32 vcc, s14, v3
	v_cndmask_b32_e32 v3, v3, v6, vcc
	v_cndmask_b32_e32 v2, v2, v5, vcc
	v_add_u32_e32 v5, 1, v2
	v_cmp_le_u32_e32 vcc, s14, v3
	v_cndmask_b32_e32 v2, v2, v5, vcc
	v_mov_b32_e32 v3, 0
.LBB0_6:
	s_or_b64 exec, exec, s[0:1]
	s_sub_u32 s0, s14, s12
	s_add_u32 s6, s0, 1
	v_mad_u64_u32 v[5:6], s[0:1], v2, s14, 0
	v_add_co_u32_e32 v2, vcc, s6, v2
	v_sub_co_u32_e32 v4, vcc, v4, v5
.LBB0_7:
	s_andn2_saveexec_b64 s[4:5], s[4:5]
	s_cbranch_execz .LBB0_15
; %bb.8:
	s_waitcnt lgkmcnt(0)
	s_lshl_b64 s[6:7], s[12:13], 1
	v_lshlrev_b64 v[2:3], 3, v[0:1]
	s_add_u32 s11, s6, -1
	v_mad_u64_u32 v[4:5], s[0:1], s11, s11, v[2:3]
	s_addc_u32 s14, s7, -1
	s_mul_i32 s0, s11, s14
	s_add_i32 s0, s0, s0
	v_add_u32_e32 v5, s0, v5
	v_cvt_f64_i32_e32 v[2:3], v5
	v_cvt_f64_u32_e32 v[6:7], v4
	s_mov_b32 s0, 0
	s_brev_b32 s1, 8
	v_ldexp_f64 v[2:3], v[2:3], 32
	v_mov_b32_e32 v8, 0x100
	s_sub_u32 s6, 1, s6
	s_subb_u32 s7, 0, s7
	v_cvt_f64_i32_e32 v[13:14], s7
	s_movk_i32 s15, 0xffe0
	s_mov_b32 s12, 0
	s_mov_b32 s13, 0xc1f00000
	v_add_f64 v[2:3], v[2:3], v[6:7]
	v_cmp_gt_f64_e32 vcc, s[0:1], v[2:3]
	v_cndmask_b32_e32 v6, 0, v8, vcc
	v_ldexp_f64 v[2:3], v[2:3], v6
	v_rsq_f64_e32 v[6:7], v[2:3]
	v_mul_f64 v[9:10], v[2:3], v[6:7]
	v_mul_f64 v[6:7], v[6:7], 0.5
	v_fma_f64 v[11:12], -v[6:7], v[9:10], 0.5
	v_fma_f64 v[9:10], v[9:10], v[11:12], v[9:10]
	v_fma_f64 v[6:7], v[6:7], v[11:12], v[6:7]
	v_fma_f64 v[11:12], -v[9:10], v[9:10], v[2:3]
	v_fma_f64 v[9:10], v[11:12], v[6:7], v[9:10]
	v_fma_f64 v[11:12], -v[9:10], v[9:10], v[2:3]
	v_fma_f64 v[6:7], v[11:12], v[6:7], v[9:10]
	v_ldexp_f64 v[11:12], v[13:14], 32
	v_cvt_f64_u32_e32 v[13:14], s6
	v_mov_b32_e32 v10, 0xffffff80
	v_mov_b32_e32 v9, 0x260
	v_cndmask_b32_e32 v15, 0, v10, vcc
	v_cmp_class_f64_e32 vcc, v[2:3], v9
	v_ldexp_f64 v[6:7], v[6:7], v15
	v_add_f64 v[11:12], v[11:12], v[13:14]
	v_cndmask_b32_e32 v7, v7, v3, vcc
	v_cndmask_b32_e32 v6, v6, v2, vcc
	v_add_f64 v[2:3], v[6:7], v[11:12]
	v_mul_f64 v[11:12], v[6:7], v[6:7]
	v_mul_f64 v[2:3], v[2:3], 0.5
	v_trunc_f64_e32 v[11:12], v[11:12]
	v_floor_f64_e32 v[2:3], v[2:3]
	v_ldexp_f64 v[13:14], v[11:12], s15
	v_ldexp_f64 v[15:16], v[2:3], s15
	v_floor_f64_e32 v[13:14], v[13:14]
	v_floor_f64_e32 v[15:16], v[15:16]
	v_fma_f64 v[11:12], v[13:14], s[12:13], v[11:12]
	v_cvt_i32_f64_e32 v13, v[13:14]
	v_fma_f64 v[2:3], v[15:16], s[12:13], v[2:3]
	v_cvt_u32_f64_e32 v12, v[11:12]
	v_cmp_ne_u64_e32 vcc, v[4:5], v[12:13]
	v_cvt_u32_f64_e32 v2, v[2:3]
	v_cvt_i32_f64_e32 v3, v[15:16]
	s_and_saveexec_b64 s[6:7], vcc
	s_cbranch_execz .LBB0_14
; %bb.9:
	v_floor_f64_e32 v[6:7], v[6:7]
	v_ldexp_f64 v[11:12], v[6:7], s15
	v_floor_f64_e32 v[11:12], v[11:12]
	v_fma_f64 v[6:7], v[11:12], s[12:13], v[6:7]
	v_cvt_i32_f64_e32 v11, v[11:12]
	v_cvt_u32_f64_e32 v6, v[6:7]
	v_mul_lo_u32 v11, v6, v11
	v_mad_u64_u32 v[6:7], s[16:17], v6, v6, 0
	v_add3_u32 v7, v7, v11, v11
	v_sub_co_u32_e32 v6, vcc, v4, v6
	v_subb_co_u32_e32 v4, vcc, v5, v7, vcc
	v_cvt_f64_i32_e32 v[4:5], v4
	v_cvt_f64_u32_e32 v[6:7], v6
	v_ldexp_f64 v[4:5], v[4:5], 32
	v_add_f64 v[4:5], v[4:5], v[6:7]
	v_cmp_lt_f64_e64 vcc, |v[4:5]|, s[0:1]
	v_cndmask_b32_e32 v6, 0, v8, vcc
	v_ldexp_f64 v[4:5], |v[4:5]|, v6
	v_cndmask_b32_e32 v8, 0, v10, vcc
	v_rsq_f64_e32 v[6:7], v[4:5]
	v_cmp_class_f64_e32 vcc, v[4:5], v9
	v_mul_f64 v[11:12], v[4:5], v[6:7]
	v_mul_f64 v[6:7], v[6:7], 0.5
	v_fma_f64 v[13:14], -v[6:7], v[11:12], 0.5
	v_fma_f64 v[11:12], v[11:12], v[13:14], v[11:12]
	v_fma_f64 v[6:7], v[6:7], v[13:14], v[6:7]
	v_fma_f64 v[13:14], -v[11:12], v[11:12], v[4:5]
	v_fma_f64 v[11:12], v[13:14], v[6:7], v[11:12]
	v_fma_f64 v[13:14], -v[11:12], v[11:12], v[4:5]
	v_fma_f64 v[6:7], v[13:14], v[6:7], v[11:12]
	v_ldexp_f64 v[6:7], v[6:7], v8
	v_cndmask_b32_e32 v5, v7, v5, vcc
	v_cndmask_b32_e32 v4, v6, v4, vcc
	v_ceil_f64_e32 v[4:5], v[4:5]
	v_ldexp_f64 v[6:7], v[4:5], s15
	v_floor_f64_e32 v[6:7], v[6:7]
	v_fma_f64 v[4:5], v[6:7], s[12:13], v[4:5]
	v_cvt_u32_f64_e32 v4, v[4:5]
	v_cvt_i32_f64_e32 v5, v[6:7]
	v_sub_co_u32_e32 v6, vcc, v2, v4
	v_subb_co_u32_e32 v7, vcc, v3, v5, vcc
	v_add_co_u32_e32 v8, vcc, v2, v4
	v_addc_co_u32_e32 v9, vcc, v3, v5, vcc
	v_cmp_gt_i64_e32 vcc, v[2:3], v[4:5]
	v_add_co_u32_e64 v4, s[0:1], 1, v8
	v_cndmask_b32_e32 v2, 0, v6, vcc
	v_cndmask_b32_e32 v3, 0, v7, vcc
	v_add_co_u32_e32 v6, vcc, 1, v2
	v_addc_co_u32_e64 v5, s[0:1], 0, v9, s[0:1]
	v_addc_co_u32_e32 v7, vcc, 0, v3, vcc
	v_cmp_lt_i64_e32 vcc, v[6:7], v[4:5]
	s_and_saveexec_b64 s[0:1], vcc
	s_cbranch_execz .LBB0_13
; %bb.10:
	v_lshlrev_b64 v[6:7], 1, v[0:1]
	s_mov_b64 s[12:13], 0
.LBB0_11:                               ; =>This Inner Loop Header: Depth=1
	v_add_co_u32_e32 v8, vcc, v2, v4
	v_addc_co_u32_e32 v9, vcc, v3, v5, vcc
	v_ashrrev_i64 v[8:9], 1, v[8:9]
	v_mov_b32_e32 v10, s14
	v_add_co_u32_e32 v11, vcc, s11, v8
	v_addc_co_u32_e32 v10, vcc, v9, v10, vcc
	v_mul_lo_u32 v12, v10, v8
	v_mul_lo_u32 v13, v11, v9
	v_mad_u64_u32 v[10:11], s[16:17], v11, v8, 0
	v_add3_u32 v11, v11, v13, v12
	v_cmp_gt_i64_e32 vcc, v[10:11], v[6:7]
	v_cndmask_b32_e32 v2, v8, v2, vcc
	v_cndmask_b32_e32 v3, v9, v3, vcc
	;; [unrolled: 1-line block ×4, first 2 shown]
	v_add_co_u32_e32 v8, vcc, 1, v2
	v_addc_co_u32_e32 v9, vcc, 0, v3, vcc
	v_cmp_ge_i64_e32 vcc, v[8:9], v[4:5]
	s_or_b64 s[12:13], vcc, s[12:13]
	s_andn2_b64 exec, exec, s[12:13]
	s_cbranch_execnz .LBB0_11
; %bb.12:
	s_or_b64 exec, exec, s[12:13]
.LBB0_13:
	s_or_b64 exec, exec, s[0:1]
.LBB0_14:
	s_or_b64 exec, exec, s[6:7]
	v_mov_b32_e32 v4, s14
	v_add_co_u32_e32 v5, vcc, s11, v2
	v_addc_co_u32_e32 v4, vcc, v3, v4, vcc
	v_mul_lo_u32 v6, v4, v2
	v_mul_lo_u32 v7, v5, v3
	v_mad_u64_u32 v[3:4], s[0:1], v5, v2, 0
	v_add3_u32 v4, v4, v7, v6
	v_ashrrev_i64 v[3:4], 1, v[3:4]
	v_sub_co_u32_e32 v4, vcc, v0, v3
.LBB0_15:
	s_or_b64 exec, exec, s[4:5]
	v_lshlrev_b64 v[0:1], 2, v[0:1]
	s_waitcnt lgkmcnt(0)
	v_mov_b32_e32 v3, s9
	v_add_co_u32_e32 v0, vcc, s8, v0
	v_add_u32_e32 v2, s10, v2
	v_addc_co_u32_e32 v1, vcc, v3, v1, vcc
	s_lshl_b64 s[0:1], s[2:3], 2
	global_store_dword v[0:1], v2, off
	v_mov_b32_e32 v2, s1
	v_add_co_u32_e32 v0, vcc, s0, v0
	v_addc_co_u32_e32 v1, vcc, v1, v2, vcc
	global_store_dword v[0:1], v4, off
.LBB0_16:
	s_endpgm
	.section	.rodata,"a",@progbits
	.p2align	6, 0x0
	.amdhsa_kernel _ZN2at6native19tril_indices_kernelIiEEvPT_lllll
		.amdhsa_group_segment_fixed_size 0
		.amdhsa_private_segment_fixed_size 0
		.amdhsa_kernarg_size 304
		.amdhsa_user_sgpr_count 6
		.amdhsa_user_sgpr_private_segment_buffer 1
		.amdhsa_user_sgpr_dispatch_ptr 0
		.amdhsa_user_sgpr_queue_ptr 0
		.amdhsa_user_sgpr_kernarg_segment_ptr 1
		.amdhsa_user_sgpr_dispatch_id 0
		.amdhsa_user_sgpr_flat_scratch_init 0
		.amdhsa_user_sgpr_private_segment_size 0
		.amdhsa_uses_dynamic_stack 0
		.amdhsa_system_sgpr_private_segment_wavefront_offset 0
		.amdhsa_system_sgpr_workgroup_id_x 1
		.amdhsa_system_sgpr_workgroup_id_y 0
		.amdhsa_system_sgpr_workgroup_id_z 0
		.amdhsa_system_sgpr_workgroup_info 0
		.amdhsa_system_vgpr_workitem_id 0
		.amdhsa_next_free_vgpr 17
		.amdhsa_next_free_sgpr 25
		.amdhsa_reserve_vcc 1
		.amdhsa_reserve_flat_scratch 0
		.amdhsa_float_round_mode_32 0
		.amdhsa_float_round_mode_16_64 0
		.amdhsa_float_denorm_mode_32 3
		.amdhsa_float_denorm_mode_16_64 3
		.amdhsa_dx10_clamp 1
		.amdhsa_ieee_mode 1
		.amdhsa_fp16_overflow 0
		.amdhsa_exception_fp_ieee_invalid_op 0
		.amdhsa_exception_fp_denorm_src 0
		.amdhsa_exception_fp_ieee_div_zero 0
		.amdhsa_exception_fp_ieee_overflow 0
		.amdhsa_exception_fp_ieee_underflow 0
		.amdhsa_exception_fp_ieee_inexact 0
		.amdhsa_exception_int_div_zero 0
	.end_amdhsa_kernel
	.section	.text._ZN2at6native19tril_indices_kernelIiEEvPT_lllll,"axG",@progbits,_ZN2at6native19tril_indices_kernelIiEEvPT_lllll,comdat
.Lfunc_end0:
	.size	_ZN2at6native19tril_indices_kernelIiEEvPT_lllll, .Lfunc_end0-_ZN2at6native19tril_indices_kernelIiEEvPT_lllll
                                        ; -- End function
	.set _ZN2at6native19tril_indices_kernelIiEEvPT_lllll.num_vgpr, 17
	.set _ZN2at6native19tril_indices_kernelIiEEvPT_lllll.num_agpr, 0
	.set _ZN2at6native19tril_indices_kernelIiEEvPT_lllll.numbered_sgpr, 25
	.set _ZN2at6native19tril_indices_kernelIiEEvPT_lllll.num_named_barrier, 0
	.set _ZN2at6native19tril_indices_kernelIiEEvPT_lllll.private_seg_size, 0
	.set _ZN2at6native19tril_indices_kernelIiEEvPT_lllll.uses_vcc, 1
	.set _ZN2at6native19tril_indices_kernelIiEEvPT_lllll.uses_flat_scratch, 0
	.set _ZN2at6native19tril_indices_kernelIiEEvPT_lllll.has_dyn_sized_stack, 0
	.set _ZN2at6native19tril_indices_kernelIiEEvPT_lllll.has_recursion, 0
	.set _ZN2at6native19tril_indices_kernelIiEEvPT_lllll.has_indirect_call, 0
	.section	.AMDGPU.csdata,"",@progbits
; Kernel info:
; codeLenInByte = 1796
; TotalNumSgprs: 29
; NumVgprs: 17
; ScratchSize: 0
; MemoryBound: 0
; FloatMode: 240
; IeeeMode: 1
; LDSByteSize: 0 bytes/workgroup (compile time only)
; SGPRBlocks: 3
; VGPRBlocks: 4
; NumSGPRsForWavesPerEU: 29
; NumVGPRsForWavesPerEU: 17
; Occupancy: 10
; WaveLimiterHint : 0
; COMPUTE_PGM_RSRC2:SCRATCH_EN: 0
; COMPUTE_PGM_RSRC2:USER_SGPR: 6
; COMPUTE_PGM_RSRC2:TRAP_HANDLER: 0
; COMPUTE_PGM_RSRC2:TGID_X_EN: 1
; COMPUTE_PGM_RSRC2:TGID_Y_EN: 0
; COMPUTE_PGM_RSRC2:TGID_Z_EN: 0
; COMPUTE_PGM_RSRC2:TIDIG_COMP_CNT: 0
	.section	.text._ZN2at6native19tril_indices_kernelIlEEvPT_lllll,"axG",@progbits,_ZN2at6native19tril_indices_kernelIlEEvPT_lllll,comdat
	.protected	_ZN2at6native19tril_indices_kernelIlEEvPT_lllll ; -- Begin function _ZN2at6native19tril_indices_kernelIlEEvPT_lllll
	.globl	_ZN2at6native19tril_indices_kernelIlEEvPT_lllll
	.p2align	8
	.type	_ZN2at6native19tril_indices_kernelIlEEvPT_lllll,@function
_ZN2at6native19tril_indices_kernelIlEEvPT_lllll: ; @_ZN2at6native19tril_indices_kernelIlEEvPT_lllll
; %bb.0:
	s_load_dword s7, s[4:5], 0x3c
	s_load_dwordx4 s[0:3], s[4:5], 0x20
	v_mov_b32_e32 v1, 0
	v_mov_b32_e32 v2, s6
	s_waitcnt lgkmcnt(0)
	s_and_b32 s7, s7, 0xffff
	v_mad_u64_u32 v[0:1], s[6:7], s7, v2, v[0:1]
	v_cmp_gt_i64_e32 vcc, s[2:3], v[0:1]
	s_and_saveexec_b64 s[6:7], vcc
	s_cbranch_execz .LBB1_16
; %bb.1:
	s_load_dwordx8 s[8:15], s[4:5], 0x0
	v_cmp_le_i64_e32 vcc, s[0:1], v[0:1]
                                        ; implicit-def: $vgpr6_vgpr7
                                        ; implicit-def: $vgpr4_vgpr5
	s_and_saveexec_b64 s[4:5], vcc
	s_xor_b64 s[4:5], exec, s[4:5]
	s_cbranch_execz .LBB1_7
; %bb.2:
	v_mov_b32_e32 v2, s1
	v_subrev_co_u32_e32 v6, vcc, s0, v0
	v_subb_co_u32_e32 v7, vcc, v1, v2, vcc
	s_waitcnt lgkmcnt(0)
	v_or_b32_e32 v3, s15, v7
	v_mov_b32_e32 v2, 0
	v_cmp_ne_u64_e32 vcc, 0, v[2:3]
                                        ; implicit-def: $vgpr2_vgpr3
	s_and_saveexec_b64 s[0:1], vcc
	s_xor_b64 s[6:7], exec, s[0:1]
	s_cbranch_execz .LBB1_4
; %bb.3:
	s_ashr_i32 s16, s15, 31
	s_add_u32 s0, s14, s16
	s_mov_b32 s17, s16
	s_addc_u32 s1, s15, s16
	s_xor_b64 s[18:19], s[0:1], s[16:17]
	v_cvt_f32_u32_e32 v2, s18
	v_cvt_f32_u32_e32 v3, s19
	s_sub_u32 s17, 0, s18
	s_subb_u32 s20, 0, s19
	v_ashrrev_i32_e32 v8, 31, v7
	v_madmk_f32 v2, v3, 0x4f800000, v2
	v_rcp_f32_e32 v2, v2
	v_mul_f32_e32 v2, 0x5f7ffffc, v2
	v_mul_f32_e32 v3, 0x2f800000, v2
	v_trunc_f32_e32 v3, v3
	v_madmk_f32 v2, v3, 0xcf800000, v2
	v_cvt_u32_f32_e32 v3, v3
	v_cvt_u32_f32_e32 v2, v2
	v_readfirstlane_b32 s21, v3
	v_readfirstlane_b32 s0, v2
	s_mul_i32 s1, s17, s21
	s_mul_hi_u32 s23, s17, s0
	s_mul_i32 s22, s20, s0
	s_add_i32 s1, s23, s1
	s_add_i32 s1, s1, s22
	s_mul_i32 s24, s17, s0
	s_mul_i32 s23, s0, s1
	s_mul_hi_u32 s25, s0, s24
	s_mul_hi_u32 s22, s0, s1
	s_add_u32 s23, s25, s23
	s_addc_u32 s22, 0, s22
	s_mul_hi_u32 s26, s21, s24
	s_mul_i32 s24, s21, s24
	s_add_u32 s23, s23, s24
	s_mul_hi_u32 s25, s21, s1
	s_addc_u32 s22, s22, s26
	s_addc_u32 s23, s25, 0
	s_mul_i32 s1, s21, s1
	s_add_u32 s1, s22, s1
	s_addc_u32 s22, 0, s23
	s_add_u32 s23, s0, s1
	s_cselect_b64 s[0:1], -1, 0
	s_cmp_lg_u64 s[0:1], 0
	s_addc_u32 s21, s21, s22
	s_mul_i32 s0, s17, s21
	s_mul_hi_u32 s1, s17, s23
	s_add_i32 s0, s1, s0
	s_mul_i32 s20, s20, s23
	s_add_i32 s0, s0, s20
	s_mul_i32 s17, s17, s23
	s_mul_hi_u32 s20, s21, s17
	s_mul_i32 s22, s21, s17
	s_mul_i32 s25, s23, s0
	s_mul_hi_u32 s17, s23, s17
	s_mul_hi_u32 s24, s23, s0
	s_add_u32 s17, s17, s25
	s_addc_u32 s24, 0, s24
	s_add_u32 s17, s17, s22
	s_mul_hi_u32 s1, s21, s0
	s_addc_u32 s17, s24, s20
	s_addc_u32 s1, s1, 0
	s_mul_i32 s0, s21, s0
	s_add_u32 s0, s17, s0
	s_addc_u32 s17, 0, s1
	s_add_u32 s20, s23, s0
	s_cselect_b64 s[0:1], -1, 0
	s_cmp_lg_u64 s[0:1], 0
	v_add_co_u32_e32 v2, vcc, v6, v8
	s_addc_u32 s17, s21, s17
	v_xor_b32_e32 v9, v2, v8
	v_mad_u64_u32 v[2:3], s[0:1], v9, s17, 0
	v_mul_hi_u32 v5, v9, s20
	v_addc_co_u32_e32 v4, vcc, v7, v8, vcc
	v_xor_b32_e32 v10, v4, v8
	v_add_co_u32_e32 v11, vcc, v5, v2
	v_addc_co_u32_e32 v12, vcc, 0, v3, vcc
	v_mad_u64_u32 v[2:3], s[0:1], v10, s20, 0
	v_mad_u64_u32 v[4:5], s[0:1], v10, s17, 0
	v_add_co_u32_e32 v2, vcc, v11, v2
	v_addc_co_u32_e32 v2, vcc, v12, v3, vcc
	v_addc_co_u32_e32 v3, vcc, 0, v5, vcc
	v_add_co_u32_e32 v4, vcc, v2, v4
	v_addc_co_u32_e32 v5, vcc, 0, v3, vcc
	v_mul_lo_u32 v11, s19, v4
	v_mul_lo_u32 v12, s18, v5
	v_mad_u64_u32 v[2:3], s[0:1], s18, v4, 0
	v_add3_u32 v3, v3, v12, v11
	v_sub_u32_e32 v11, v10, v3
	v_mov_b32_e32 v12, s19
	v_sub_co_u32_e32 v2, vcc, v9, v2
	v_subb_co_u32_e64 v9, s[0:1], v11, v12, vcc
	v_subrev_co_u32_e64 v11, s[0:1], s18, v2
	v_subbrev_co_u32_e64 v9, s[0:1], 0, v9, s[0:1]
	v_cmp_le_u32_e64 s[0:1], s19, v9
	v_cndmask_b32_e64 v12, 0, -1, s[0:1]
	v_cmp_le_u32_e64 s[0:1], s18, v11
	v_cndmask_b32_e64 v11, 0, -1, s[0:1]
	v_cmp_eq_u32_e64 s[0:1], s19, v9
	v_cndmask_b32_e64 v9, v12, v11, s[0:1]
	v_add_co_u32_e64 v11, s[0:1], 2, v4
	v_subb_co_u32_e32 v3, vcc, v10, v3, vcc
	v_addc_co_u32_e64 v12, s[0:1], 0, v5, s[0:1]
	v_cmp_le_u32_e32 vcc, s19, v3
	v_add_co_u32_e64 v13, s[0:1], 1, v4
	v_cndmask_b32_e64 v10, 0, -1, vcc
	v_cmp_le_u32_e32 vcc, s18, v2
	v_addc_co_u32_e64 v14, s[0:1], 0, v5, s[0:1]
	v_cndmask_b32_e64 v2, 0, -1, vcc
	v_cmp_eq_u32_e32 vcc, s19, v3
	v_cmp_ne_u32_e64 s[0:1], 0, v9
	v_cndmask_b32_e32 v2, v10, v2, vcc
	v_cndmask_b32_e64 v9, v14, v12, s[0:1]
	v_cmp_ne_u32_e32 vcc, 0, v2
	v_cndmask_b32_e64 v3, v13, v11, s[0:1]
	v_cndmask_b32_e32 v2, v5, v9, vcc
	v_cndmask_b32_e32 v3, v4, v3, vcc
	v_xor_b32_e32 v4, s16, v8
	v_xor_b32_e32 v5, v2, v4
	;; [unrolled: 1-line block ×3, first 2 shown]
	v_sub_co_u32_e32 v2, vcc, v2, v4
	v_subb_co_u32_e32 v3, vcc, v5, v4, vcc
.LBB1_4:
	s_andn2_saveexec_b64 s[0:1], s[6:7]
	s_cbranch_execz .LBB1_6
; %bb.5:
	v_cvt_f32_u32_e32 v2, s14
	s_sub_i32 s6, 0, s14
	v_rcp_iflag_f32_e32 v2, v2
	v_mul_f32_e32 v2, 0x4f7ffffe, v2
	v_cvt_u32_f32_e32 v2, v2
	v_mul_lo_u32 v3, s6, v2
	v_mul_hi_u32 v3, v2, v3
	v_add_u32_e32 v2, v2, v3
	v_mul_hi_u32 v2, v6, v2
	v_mul_lo_u32 v3, v2, s14
	v_add_u32_e32 v4, 1, v2
	v_sub_u32_e32 v3, v6, v3
	v_subrev_u32_e32 v5, s14, v3
	v_cmp_le_u32_e32 vcc, s14, v3
	v_cndmask_b32_e32 v3, v3, v5, vcc
	v_cndmask_b32_e32 v2, v2, v4, vcc
	v_add_u32_e32 v4, 1, v2
	v_cmp_le_u32_e32 vcc, s14, v3
	v_cndmask_b32_e32 v2, v2, v4, vcc
	v_mov_b32_e32 v3, 0
.LBB1_6:
	s_or_b64 exec, exec, s[0:1]
	s_sub_u32 s0, s14, s12
	s_subb_u32 s1, s15, s13
	s_add_u32 s6, s0, 1
	s_addc_u32 s0, s1, 0
	v_mov_b32_e32 v5, s0
	v_mul_lo_u32 v10, v3, s14
	v_mul_lo_u32 v11, v2, s15
	v_mad_u64_u32 v[8:9], s[0:1], v2, s14, 0
	v_add_co_u32_e32 v4, vcc, s6, v2
	v_addc_co_u32_e32 v5, vcc, v5, v3, vcc
	v_add3_u32 v2, v9, v11, v10
	v_sub_co_u32_e32 v6, vcc, v6, v8
	v_subb_co_u32_e32 v7, vcc, v7, v2, vcc
.LBB1_7:
	s_or_saveexec_b64 s[4:5], s[4:5]
	v_lshlrev_b64 v[2:3], 3, v[0:1]
	s_xor_b64 exec, exec, s[4:5]
	s_cbranch_execz .LBB1_15
; %bb.8:
	s_waitcnt lgkmcnt(0)
	s_lshl_b64 s[6:7], s[12:13], 1
	s_add_u32 s14, s6, -1
	v_mad_u64_u32 v[6:7], s[0:1], s14, s14, v[2:3]
	s_addc_u32 s15, s7, -1
	s_mul_i32 s0, s14, s15
	s_add_i32 s0, s0, s0
	v_add_u32_e32 v7, s0, v7
	v_cvt_f64_i32_e32 v[4:5], v7
	v_cvt_f64_u32_e32 v[8:9], v6
	s_mov_b32 s0, 0
	s_brev_b32 s1, 8
	v_ldexp_f64 v[4:5], v[4:5], 32
	v_mov_b32_e32 v10, 0x100
	s_sub_u32 s6, 1, s6
	s_subb_u32 s7, 0, s7
	v_cvt_f64_i32_e32 v[15:16], s7
	s_movk_i32 s16, 0xffe0
	s_mov_b32 s12, 0
	s_mov_b32 s13, 0xc1f00000
	v_add_f64 v[4:5], v[4:5], v[8:9]
	v_cmp_gt_f64_e32 vcc, s[0:1], v[4:5]
	v_cndmask_b32_e32 v8, 0, v10, vcc
	v_ldexp_f64 v[4:5], v[4:5], v8
	v_rsq_f64_e32 v[8:9], v[4:5]
	v_mul_f64 v[11:12], v[4:5], v[8:9]
	v_mul_f64 v[8:9], v[8:9], 0.5
	v_fma_f64 v[13:14], -v[8:9], v[11:12], 0.5
	v_fma_f64 v[11:12], v[11:12], v[13:14], v[11:12]
	v_fma_f64 v[8:9], v[8:9], v[13:14], v[8:9]
	v_fma_f64 v[13:14], -v[11:12], v[11:12], v[4:5]
	v_fma_f64 v[11:12], v[13:14], v[8:9], v[11:12]
	v_fma_f64 v[13:14], -v[11:12], v[11:12], v[4:5]
	v_fma_f64 v[8:9], v[13:14], v[8:9], v[11:12]
	v_ldexp_f64 v[13:14], v[15:16], 32
	v_cvt_f64_u32_e32 v[15:16], s6
	v_mov_b32_e32 v12, 0xffffff80
	v_mov_b32_e32 v11, 0x260
	v_cndmask_b32_e32 v17, 0, v12, vcc
	v_cmp_class_f64_e32 vcc, v[4:5], v11
	v_ldexp_f64 v[8:9], v[8:9], v17
	v_add_f64 v[13:14], v[13:14], v[15:16]
	v_cndmask_b32_e32 v9, v9, v5, vcc
	v_cndmask_b32_e32 v8, v8, v4, vcc
	v_add_f64 v[4:5], v[8:9], v[13:14]
	v_mul_f64 v[13:14], v[8:9], v[8:9]
	v_mul_f64 v[4:5], v[4:5], 0.5
	v_trunc_f64_e32 v[13:14], v[13:14]
	v_floor_f64_e32 v[4:5], v[4:5]
	v_ldexp_f64 v[15:16], v[13:14], s16
	v_ldexp_f64 v[17:18], v[4:5], s16
	v_floor_f64_e32 v[15:16], v[15:16]
	v_floor_f64_e32 v[17:18], v[17:18]
	v_fma_f64 v[13:14], v[15:16], s[12:13], v[13:14]
	v_cvt_i32_f64_e32 v15, v[15:16]
	v_fma_f64 v[4:5], v[17:18], s[12:13], v[4:5]
	v_cvt_u32_f64_e32 v14, v[13:14]
	v_cmp_ne_u64_e32 vcc, v[6:7], v[14:15]
	v_cvt_u32_f64_e32 v4, v[4:5]
	v_cvt_i32_f64_e32 v5, v[17:18]
	s_and_saveexec_b64 s[6:7], vcc
	s_cbranch_execz .LBB1_14
; %bb.9:
	v_floor_f64_e32 v[8:9], v[8:9]
	v_ldexp_f64 v[13:14], v[8:9], s16
	v_floor_f64_e32 v[13:14], v[13:14]
	v_fma_f64 v[8:9], v[13:14], s[12:13], v[8:9]
	v_cvt_i32_f64_e32 v13, v[13:14]
	v_cvt_u32_f64_e32 v8, v[8:9]
	v_mul_lo_u32 v13, v8, v13
	v_mad_u64_u32 v[8:9], s[18:19], v8, v8, 0
	v_add3_u32 v9, v9, v13, v13
	v_sub_co_u32_e32 v8, vcc, v6, v8
	v_subb_co_u32_e32 v6, vcc, v7, v9, vcc
	v_cvt_f64_i32_e32 v[6:7], v6
	v_cvt_f64_u32_e32 v[8:9], v8
	v_ldexp_f64 v[6:7], v[6:7], 32
	v_add_f64 v[6:7], v[6:7], v[8:9]
	v_cmp_lt_f64_e64 vcc, |v[6:7]|, s[0:1]
	v_cndmask_b32_e32 v8, 0, v10, vcc
	v_ldexp_f64 v[6:7], |v[6:7]|, v8
	v_cndmask_b32_e32 v10, 0, v12, vcc
	v_rsq_f64_e32 v[8:9], v[6:7]
	v_cmp_class_f64_e32 vcc, v[6:7], v11
	v_mul_f64 v[13:14], v[6:7], v[8:9]
	v_mul_f64 v[8:9], v[8:9], 0.5
	v_fma_f64 v[15:16], -v[8:9], v[13:14], 0.5
	v_fma_f64 v[13:14], v[13:14], v[15:16], v[13:14]
	v_fma_f64 v[8:9], v[8:9], v[15:16], v[8:9]
	v_fma_f64 v[15:16], -v[13:14], v[13:14], v[6:7]
	v_fma_f64 v[13:14], v[15:16], v[8:9], v[13:14]
	v_fma_f64 v[15:16], -v[13:14], v[13:14], v[6:7]
	v_fma_f64 v[8:9], v[15:16], v[8:9], v[13:14]
	v_ldexp_f64 v[8:9], v[8:9], v10
	v_cndmask_b32_e32 v7, v9, v7, vcc
	v_cndmask_b32_e32 v6, v8, v6, vcc
	v_ceil_f64_e32 v[6:7], v[6:7]
	v_ldexp_f64 v[8:9], v[6:7], s16
	v_floor_f64_e32 v[8:9], v[8:9]
	v_fma_f64 v[6:7], v[8:9], s[12:13], v[6:7]
	v_cvt_u32_f64_e32 v6, v[6:7]
	v_cvt_i32_f64_e32 v7, v[8:9]
	v_sub_co_u32_e32 v8, vcc, v4, v6
	v_subb_co_u32_e32 v9, vcc, v5, v7, vcc
	v_add_co_u32_e32 v10, vcc, v4, v6
	v_addc_co_u32_e32 v11, vcc, v5, v7, vcc
	v_cmp_gt_i64_e32 vcc, v[4:5], v[6:7]
	v_add_co_u32_e64 v6, s[0:1], 1, v10
	v_cndmask_b32_e32 v4, 0, v8, vcc
	v_cndmask_b32_e32 v5, 0, v9, vcc
	v_add_co_u32_e32 v8, vcc, 1, v4
	v_addc_co_u32_e64 v7, s[0:1], 0, v11, s[0:1]
	v_addc_co_u32_e32 v9, vcc, 0, v5, vcc
	v_cmp_lt_i64_e32 vcc, v[8:9], v[6:7]
	s_and_saveexec_b64 s[0:1], vcc
	s_cbranch_execz .LBB1_13
; %bb.10:
	v_lshlrev_b64 v[8:9], 1, v[0:1]
	s_mov_b64 s[12:13], 0
.LBB1_11:                               ; =>This Inner Loop Header: Depth=1
	v_add_co_u32_e32 v10, vcc, v4, v6
	v_addc_co_u32_e32 v11, vcc, v5, v7, vcc
	v_ashrrev_i64 v[10:11], 1, v[10:11]
	v_mov_b32_e32 v12, s15
	v_add_co_u32_e32 v13, vcc, s14, v10
	v_addc_co_u32_e32 v12, vcc, v11, v12, vcc
	v_mul_lo_u32 v14, v12, v10
	v_mul_lo_u32 v15, v13, v11
	v_mad_u64_u32 v[12:13], s[16:17], v13, v10, 0
	v_add3_u32 v13, v13, v15, v14
	v_cmp_gt_i64_e32 vcc, v[12:13], v[8:9]
	v_cndmask_b32_e32 v4, v10, v4, vcc
	v_cndmask_b32_e32 v5, v11, v5, vcc
	;; [unrolled: 1-line block ×4, first 2 shown]
	v_add_co_u32_e32 v10, vcc, 1, v4
	v_addc_co_u32_e32 v11, vcc, 0, v5, vcc
	v_cmp_ge_i64_e32 vcc, v[10:11], v[6:7]
	s_or_b64 s[12:13], vcc, s[12:13]
	s_andn2_b64 exec, exec, s[12:13]
	s_cbranch_execnz .LBB1_11
; %bb.12:
	s_or_b64 exec, exec, s[12:13]
.LBB1_13:
	s_or_b64 exec, exec, s[0:1]
.LBB1_14:
	s_or_b64 exec, exec, s[6:7]
	v_mov_b32_e32 v6, s15
	v_add_co_u32_e32 v7, vcc, s14, v4
	v_addc_co_u32_e32 v6, vcc, v5, v6, vcc
	v_mul_lo_u32 v8, v6, v4
	v_mul_lo_u32 v9, v7, v5
	v_mad_u64_u32 v[6:7], s[0:1], v7, v4, 0
	v_add3_u32 v7, v7, v9, v8
	v_ashrrev_i64 v[6:7], 1, v[6:7]
	v_sub_co_u32_e32 v6, vcc, v0, v6
	v_subb_co_u32_e32 v7, vcc, v1, v7, vcc
.LBB1_15:
	s_or_b64 exec, exec, s[4:5]
	s_waitcnt lgkmcnt(0)
	v_mov_b32_e32 v1, s11
	v_add_co_u32_e32 v0, vcc, s10, v4
	v_addc_co_u32_e32 v1, vcc, v5, v1, vcc
	v_mov_b32_e32 v4, s9
	v_add_co_u32_e32 v2, vcc, s8, v2
	v_addc_co_u32_e32 v3, vcc, v4, v3, vcc
	s_lshl_b64 s[0:1], s[2:3], 3
	global_store_dwordx2 v[2:3], v[0:1], off
	v_mov_b32_e32 v1, s1
	v_add_co_u32_e32 v0, vcc, s0, v2
	v_addc_co_u32_e32 v1, vcc, v3, v1, vcc
	global_store_dwordx2 v[0:1], v[6:7], off
.LBB1_16:
	s_endpgm
	.section	.rodata,"a",@progbits
	.p2align	6, 0x0
	.amdhsa_kernel _ZN2at6native19tril_indices_kernelIlEEvPT_lllll
		.amdhsa_group_segment_fixed_size 0
		.amdhsa_private_segment_fixed_size 0
		.amdhsa_kernarg_size 304
		.amdhsa_user_sgpr_count 6
		.amdhsa_user_sgpr_private_segment_buffer 1
		.amdhsa_user_sgpr_dispatch_ptr 0
		.amdhsa_user_sgpr_queue_ptr 0
		.amdhsa_user_sgpr_kernarg_segment_ptr 1
		.amdhsa_user_sgpr_dispatch_id 0
		.amdhsa_user_sgpr_flat_scratch_init 0
		.amdhsa_user_sgpr_private_segment_size 0
		.amdhsa_uses_dynamic_stack 0
		.amdhsa_system_sgpr_private_segment_wavefront_offset 0
		.amdhsa_system_sgpr_workgroup_id_x 1
		.amdhsa_system_sgpr_workgroup_id_y 0
		.amdhsa_system_sgpr_workgroup_id_z 0
		.amdhsa_system_sgpr_workgroup_info 0
		.amdhsa_system_vgpr_workitem_id 0
		.amdhsa_next_free_vgpr 19
		.amdhsa_next_free_sgpr 27
		.amdhsa_reserve_vcc 1
		.amdhsa_reserve_flat_scratch 0
		.amdhsa_float_round_mode_32 0
		.amdhsa_float_round_mode_16_64 0
		.amdhsa_float_denorm_mode_32 3
		.amdhsa_float_denorm_mode_16_64 3
		.amdhsa_dx10_clamp 1
		.amdhsa_ieee_mode 1
		.amdhsa_fp16_overflow 0
		.amdhsa_exception_fp_ieee_invalid_op 0
		.amdhsa_exception_fp_denorm_src 0
		.amdhsa_exception_fp_ieee_div_zero 0
		.amdhsa_exception_fp_ieee_overflow 0
		.amdhsa_exception_fp_ieee_underflow 0
		.amdhsa_exception_fp_ieee_inexact 0
		.amdhsa_exception_int_div_zero 0
	.end_amdhsa_kernel
	.section	.text._ZN2at6native19tril_indices_kernelIlEEvPT_lllll,"axG",@progbits,_ZN2at6native19tril_indices_kernelIlEEvPT_lllll,comdat
.Lfunc_end1:
	.size	_ZN2at6native19tril_indices_kernelIlEEvPT_lllll, .Lfunc_end1-_ZN2at6native19tril_indices_kernelIlEEvPT_lllll
                                        ; -- End function
	.set _ZN2at6native19tril_indices_kernelIlEEvPT_lllll.num_vgpr, 19
	.set _ZN2at6native19tril_indices_kernelIlEEvPT_lllll.num_agpr, 0
	.set _ZN2at6native19tril_indices_kernelIlEEvPT_lllll.numbered_sgpr, 27
	.set _ZN2at6native19tril_indices_kernelIlEEvPT_lllll.num_named_barrier, 0
	.set _ZN2at6native19tril_indices_kernelIlEEvPT_lllll.private_seg_size, 0
	.set _ZN2at6native19tril_indices_kernelIlEEvPT_lllll.uses_vcc, 1
	.set _ZN2at6native19tril_indices_kernelIlEEvPT_lllll.uses_flat_scratch, 0
	.set _ZN2at6native19tril_indices_kernelIlEEvPT_lllll.has_dyn_sized_stack, 0
	.set _ZN2at6native19tril_indices_kernelIlEEvPT_lllll.has_recursion, 0
	.set _ZN2at6native19tril_indices_kernelIlEEvPT_lllll.has_indirect_call, 0
	.section	.AMDGPU.csdata,"",@progbits
; Kernel info:
; codeLenInByte = 1848
; TotalNumSgprs: 31
; NumVgprs: 19
; ScratchSize: 0
; MemoryBound: 0
; FloatMode: 240
; IeeeMode: 1
; LDSByteSize: 0 bytes/workgroup (compile time only)
; SGPRBlocks: 3
; VGPRBlocks: 4
; NumSGPRsForWavesPerEU: 31
; NumVGPRsForWavesPerEU: 19
; Occupancy: 10
; WaveLimiterHint : 0
; COMPUTE_PGM_RSRC2:SCRATCH_EN: 0
; COMPUTE_PGM_RSRC2:USER_SGPR: 6
; COMPUTE_PGM_RSRC2:TRAP_HANDLER: 0
; COMPUTE_PGM_RSRC2:TGID_X_EN: 1
; COMPUTE_PGM_RSRC2:TGID_Y_EN: 0
; COMPUTE_PGM_RSRC2:TGID_Z_EN: 0
; COMPUTE_PGM_RSRC2:TIDIG_COMP_CNT: 0
	.section	.text._ZN2at6native19triu_indices_kernelIiEEvPT_lllll,"axG",@progbits,_ZN2at6native19triu_indices_kernelIiEEvPT_lllll,comdat
	.protected	_ZN2at6native19triu_indices_kernelIiEEvPT_lllll ; -- Begin function _ZN2at6native19triu_indices_kernelIiEEvPT_lllll
	.globl	_ZN2at6native19triu_indices_kernelIiEEvPT_lllll
	.p2align	8
	.type	_ZN2at6native19triu_indices_kernelIiEEvPT_lllll,@function
_ZN2at6native19triu_indices_kernelIiEEvPT_lllll: ; @_ZN2at6native19triu_indices_kernelIiEEvPT_lllll
; %bb.0:
	s_load_dword s0, s[4:5], 0x3c
	s_load_dwordx4 s[16:19], s[4:5], 0x20
	v_mov_b32_e32 v1, 0
	v_mov_b32_e32 v2, s6
	s_waitcnt lgkmcnt(0)
	s_and_b32 s0, s0, 0xffff
	v_mad_u64_u32 v[0:1], s[0:1], s0, v2, v[0:1]
	v_cmp_gt_i64_e32 vcc, s[18:19], v[0:1]
	s_and_saveexec_b64 s[0:1], vcc
	s_cbranch_execz .LBB2_19
; %bb.1:
	s_load_dwordx8 s[8:15], s[4:5], 0x0
	v_cmp_le_i64_e32 vcc, s[16:17], v[0:1]
                                        ; implicit-def: $vgpr5_vgpr6
                                        ; implicit-def: $vgpr2_vgpr3
	s_and_saveexec_b64 s[0:1], vcc
	s_xor_b64 s[2:3], exec, s[0:1]
	s_cbranch_execz .LBB2_12
; %bb.2:
	s_waitcnt lgkmcnt(0)
	s_lshl_b64 s[4:5], s[12:13], 1
	v_mov_b32_e32 v3, s17
	v_subrev_co_u32_e32 v2, vcc, s16, v0
	s_not_b64 s[0:1], s[4:5]
	v_subb_co_u32_e32 v3, vcc, v1, v3, vcc
	s_mul_i32 s1, s0, s1
	s_mul_hi_u32 s6, s0, s0
	v_lshlrev_b64 v[4:5], 3, v[2:3]
	s_add_i32 s6, s6, s1
	s_add_i32 s1, s6, s1
	s_mul_i32 s0, s0, s0
	v_mov_b32_e32 v7, s1
	v_sub_co_u32_e32 v6, vcc, s0, v4
	v_subb_co_u32_e32 v7, vcc, v7, v5, vcc
	v_cvt_f64_i32_e32 v[4:5], v7
	v_cvt_f64_u32_e32 v[8:9], v6
	s_mov_b32 s0, 0
	s_brev_b32 s1, 8
	v_ldexp_f64 v[4:5], v[4:5], 32
	v_mov_b32_e32 v10, 0x100
	v_cvt_f64_i32_e32 v[15:16], s5
	s_or_b32 s4, s4, 1
	s_movk_i32 s7, 0xffe0
	s_mov_b32 s20, 0
	s_mov_b32 s21, 0xc1f00000
	;; [unrolled: 1-line block ×3, first 2 shown]
	v_add_f64 v[4:5], v[4:5], v[8:9]
	v_cmp_gt_f64_e32 vcc, s[0:1], v[4:5]
	v_cndmask_b32_e32 v8, 0, v10, vcc
	v_ldexp_f64 v[4:5], v[4:5], v8
	v_rsq_f64_e32 v[8:9], v[4:5]
	v_mul_f64 v[11:12], v[4:5], v[8:9]
	v_mul_f64 v[8:9], v[8:9], 0.5
	v_fma_f64 v[13:14], -v[8:9], v[11:12], 0.5
	v_fma_f64 v[11:12], v[11:12], v[13:14], v[11:12]
	v_fma_f64 v[8:9], v[8:9], v[13:14], v[8:9]
	v_fma_f64 v[13:14], -v[11:12], v[11:12], v[4:5]
	v_fma_f64 v[11:12], v[13:14], v[8:9], v[11:12]
	v_fma_f64 v[13:14], -v[11:12], v[11:12], v[4:5]
	v_fma_f64 v[8:9], v[13:14], v[8:9], v[11:12]
	v_ldexp_f64 v[13:14], v[15:16], 32
	v_cvt_f64_u32_e32 v[15:16], s4
	v_mov_b32_e32 v12, 0xffffff80
	v_mov_b32_e32 v11, 0x260
	v_cndmask_b32_e32 v17, 0, v12, vcc
	v_cmp_class_f64_e32 vcc, v[4:5], v11
	v_ldexp_f64 v[8:9], v[8:9], v17
	v_add_f64 v[13:14], v[13:14], v[15:16]
	v_cndmask_b32_e32 v9, v9, v5, vcc
	v_cndmask_b32_e32 v8, v8, v4, vcc
	v_add_f64 v[4:5], v[13:14], -v[8:9]
	v_mul_f64 v[13:14], v[8:9], v[8:9]
	v_mul_f64 v[4:5], v[4:5], 0.5
	v_trunc_f64_e32 v[13:14], v[13:14]
	v_floor_f64_e32 v[4:5], v[4:5]
	v_ldexp_f64 v[15:16], v[13:14], s7
	v_ldexp_f64 v[17:18], v[4:5], s7
	v_floor_f64_e32 v[15:16], v[15:16]
	v_floor_f64_e32 v[17:18], v[17:18]
	v_fma_f64 v[13:14], v[15:16], s[20:21], v[13:14]
	v_cvt_i32_f64_e32 v15, v[15:16]
	v_fma_f64 v[4:5], v[17:18], s[20:21], v[4:5]
	v_cvt_u32_f64_e32 v14, v[13:14]
	v_cmp_ne_u64_e32 vcc, v[6:7], v[14:15]
	v_cvt_u32_f64_e32 v4, v[4:5]
	v_cvt_i32_f64_e32 v5, v[17:18]
	s_and_saveexec_b64 s[12:13], vcc
	s_cbranch_execz .LBB2_8
; %bb.3:
	v_floor_f64_e32 v[8:9], v[8:9]
	v_ldexp_f64 v[13:14], v[8:9], s7
	v_floor_f64_e32 v[13:14], v[13:14]
	v_fma_f64 v[8:9], v[13:14], s[20:21], v[8:9]
	v_cvt_i32_f64_e32 v13, v[13:14]
	v_cvt_u32_f64_e32 v8, v[8:9]
	v_mul_lo_u32 v13, v8, v13
	v_mad_u64_u32 v[8:9], s[22:23], v8, v8, 0
	v_add3_u32 v9, v9, v13, v13
	v_sub_co_u32_e32 v8, vcc, v6, v8
	v_subb_co_u32_e32 v6, vcc, v7, v9, vcc
	v_cvt_f64_i32_e32 v[6:7], v6
	v_cvt_f64_u32_e32 v[8:9], v8
	v_ldexp_f64 v[6:7], v[6:7], 32
	v_add_f64 v[6:7], v[6:7], v[8:9]
	v_cmp_lt_f64_e64 vcc, |v[6:7]|, s[0:1]
	v_cndmask_b32_e32 v8, 0, v10, vcc
	v_ldexp_f64 v[6:7], |v[6:7]|, v8
	v_cndmask_b32_e32 v10, 0, v12, vcc
	v_rsq_f64_e32 v[8:9], v[6:7]
	v_cmp_class_f64_e32 vcc, v[6:7], v11
	v_mul_f64 v[13:14], v[6:7], v[8:9]
	v_mul_f64 v[8:9], v[8:9], 0.5
	v_fma_f64 v[15:16], -v[8:9], v[13:14], 0.5
	v_fma_f64 v[13:14], v[13:14], v[15:16], v[13:14]
	v_fma_f64 v[8:9], v[8:9], v[15:16], v[8:9]
	v_fma_f64 v[15:16], -v[13:14], v[13:14], v[6:7]
	v_fma_f64 v[13:14], v[15:16], v[8:9], v[13:14]
	v_fma_f64 v[15:16], -v[13:14], v[13:14], v[6:7]
	v_fma_f64 v[8:9], v[15:16], v[8:9], v[13:14]
	v_ldexp_f64 v[8:9], v[8:9], v10
	v_cndmask_b32_e32 v7, v9, v7, vcc
	v_cndmask_b32_e32 v6, v8, v6, vcc
	v_ceil_f64_e32 v[6:7], v[6:7]
	v_ldexp_f64 v[8:9], v[6:7], s7
	v_floor_f64_e32 v[8:9], v[8:9]
	v_fma_f64 v[6:7], v[8:9], s[20:21], v[6:7]
	v_cvt_u32_f64_e32 v6, v[6:7]
	v_cvt_i32_f64_e32 v7, v[8:9]
	v_sub_co_u32_e32 v8, vcc, v4, v6
	v_subb_co_u32_e32 v9, vcc, v5, v7, vcc
	v_add_co_u32_e32 v10, vcc, v4, v6
	v_addc_co_u32_e32 v11, vcc, v5, v7, vcc
	v_cmp_gt_i64_e32 vcc, v[4:5], v[6:7]
	v_add_co_u32_e64 v6, s[0:1], 1, v10
	v_cndmask_b32_e32 v4, 0, v8, vcc
	v_cndmask_b32_e32 v5, 0, v9, vcc
	v_add_co_u32_e32 v8, vcc, 1, v4
	v_addc_co_u32_e64 v7, s[0:1], 0, v11, s[0:1]
	v_addc_co_u32_e32 v9, vcc, 0, v5, vcc
	v_cmp_lt_i64_e32 vcc, v[8:9], v[6:7]
	s_and_saveexec_b64 s[0:1], vcc
	s_cbranch_execz .LBB2_7
; %bb.4:
	v_lshlrev_b64 v[8:9], 1, v[2:3]
	s_mov_b64 s[20:21], 0
.LBB2_5:                                ; =>This Inner Loop Header: Depth=1
	v_add_co_u32_e32 v10, vcc, v4, v6
	v_addc_co_u32_e32 v11, vcc, v5, v7, vcc
	v_ashrrev_i64 v[10:11], 1, v[10:11]
	v_mov_b32_e32 v3, s5
	v_sub_co_u32_e32 v12, vcc, s4, v10
	v_subb_co_u32_e32 v3, vcc, v3, v11, vcc
	v_mul_lo_u32 v3, v3, v10
	v_mul_lo_u32 v14, v12, v11
	v_mad_u64_u32 v[12:13], s[22:23], v12, v10, 0
	v_add3_u32 v13, v13, v14, v3
	v_cmp_gt_i64_e32 vcc, v[12:13], v[8:9]
	v_cndmask_b32_e32 v4, v10, v4, vcc
	v_cndmask_b32_e32 v5, v11, v5, vcc
	;; [unrolled: 1-line block ×4, first 2 shown]
	v_add_co_u32_e32 v10, vcc, 1, v4
	v_addc_co_u32_e32 v11, vcc, 0, v5, vcc
	v_cmp_ge_i64_e32 vcc, v[10:11], v[6:7]
	s_or_b64 s[20:21], vcc, s[20:21]
	s_andn2_b64 exec, exec, s[20:21]
	s_cbranch_execnz .LBB2_5
; %bb.6:
	s_or_b64 exec, exec, s[20:21]
.LBB2_7:
	s_or_b64 exec, exec, s[0:1]
.LBB2_8:
	s_or_b64 exec, exec, s[12:13]
	s_or_b64 s[0:1], s[16:17], s[14:15]
	s_mov_b32 s7, s1
	s_cmp_lg_u64 s[6:7], 0
	s_cbranch_scc0 .LBB2_20
; %bb.9:
	s_ashr_i32 s0, s15, 31
	s_add_u32 s6, s14, s0
	s_mov_b32 s1, s0
	s_addc_u32 s7, s15, s0
	s_xor_b64 s[12:13], s[6:7], s[0:1]
	v_cvt_f32_u32_e32 v3, s12
	v_cvt_f32_u32_e32 v6, s13
	s_sub_u32 s11, 0, s12
	s_subb_u32 s22, 0, s13
	v_madmk_f32 v3, v6, 0x4f800000, v3
	v_rcp_f32_e32 v3, v3
	v_mul_f32_e32 v3, 0x5f7ffffc, v3
	v_mul_f32_e32 v6, 0x2f800000, v3
	v_trunc_f32_e32 v6, v6
	v_madmk_f32 v3, v6, 0xcf800000, v3
	v_cvt_u32_f32_e32 v6, v6
	v_cvt_u32_f32_e32 v3, v3
	v_readfirstlane_b32 s23, v6
	v_readfirstlane_b32 s20, v3
	s_mul_i32 s21, s11, s23
	s_mul_hi_u32 s25, s11, s20
	s_mul_i32 s24, s22, s20
	s_add_i32 s21, s25, s21
	s_add_i32 s21, s21, s24
	s_mul_i32 s26, s11, s20
	s_mul_i32 s25, s20, s21
	s_mul_hi_u32 s27, s20, s26
	s_mul_hi_u32 s24, s20, s21
	s_add_u32 s25, s27, s25
	s_addc_u32 s24, 0, s24
	s_mul_hi_u32 s28, s23, s26
	s_mul_i32 s26, s23, s26
	s_add_u32 s25, s25, s26
	s_mul_hi_u32 s27, s23, s21
	s_addc_u32 s24, s24, s28
	s_addc_u32 s25, s27, 0
	s_mul_i32 s21, s23, s21
	s_add_u32 s21, s24, s21
	s_addc_u32 s24, 0, s25
	s_add_u32 s25, s20, s21
	s_cselect_b64 s[20:21], -1, 0
	s_cmp_lg_u64 s[20:21], 0
	s_addc_u32 s23, s23, s24
	s_mul_i32 s20, s11, s23
	s_mul_hi_u32 s21, s11, s25
	s_add_i32 s20, s21, s20
	s_mul_i32 s22, s22, s25
	s_add_i32 s20, s20, s22
	s_mul_i32 s11, s11, s25
	s_mul_hi_u32 s22, s23, s11
	s_mul_i32 s24, s23, s11
	s_mul_i32 s27, s25, s20
	s_mul_hi_u32 s11, s25, s11
	s_mul_hi_u32 s26, s25, s20
	s_add_u32 s11, s11, s27
	s_addc_u32 s26, 0, s26
	s_add_u32 s11, s11, s24
	s_mul_hi_u32 s21, s23, s20
	s_addc_u32 s11, s26, s22
	s_addc_u32 s21, s21, 0
	s_mul_i32 s20, s23, s20
	s_add_u32 s11, s11, s20
	s_addc_u32 s22, 0, s21
	s_add_u32 s11, s25, s11
	s_cselect_b64 s[20:21], -1, 0
	s_cmp_lg_u64 s[20:21], 0
	s_addc_u32 s24, s23, s22
	s_ashr_i32 s20, s17, 31
	s_add_u32 s22, s16, s20
	s_mov_b32 s21, s20
	s_addc_u32 s23, s17, s20
	s_xor_b64 s[22:23], s[22:23], s[20:21]
	s_mul_i32 s25, s22, s24
	s_mul_hi_u32 s26, s22, s11
	s_mul_hi_u32 s17, s22, s24
	s_add_u32 s25, s26, s25
	s_addc_u32 s17, 0, s17
	s_mul_hi_u32 s27, s23, s11
	s_mul_i32 s11, s23, s11
	s_add_u32 s11, s25, s11
	s_mul_hi_u32 s26, s23, s24
	s_addc_u32 s11, s17, s27
	s_addc_u32 s17, s26, 0
	s_mul_i32 s24, s23, s24
	s_add_u32 s11, s11, s24
	s_addc_u32 s17, 0, s17
	s_mul_i32 s24, s12, s17
	s_mul_hi_u32 s25, s12, s11
	s_add_i32 s24, s25, s24
	s_mul_i32 s25, s13, s11
	s_add_i32 s28, s24, s25
	s_sub_i32 s26, s23, s28
	s_mul_i32 s24, s12, s11
	s_sub_u32 s22, s22, s24
	s_cselect_b64 s[24:25], -1, 0
	s_cmp_lg_u64 s[24:25], 0
	s_subb_u32 s29, s26, s13
	s_sub_u32 s30, s22, s12
	s_cselect_b64 s[26:27], -1, 0
	s_cmp_lg_u64 s[26:27], 0
	s_subb_u32 s26, s29, 0
	s_cmp_ge_u32 s26, s13
	s_cselect_b32 s27, -1, 0
	s_cmp_ge_u32 s30, s12
	s_cselect_b32 s29, -1, 0
	s_cmp_eq_u32 s26, s13
	s_cselect_b32 s26, s29, s27
	s_add_u32 s27, s11, 1
	s_addc_u32 s29, s17, 0
	s_add_u32 s30, s11, 2
	s_addc_u32 s31, s17, 0
	s_cmp_lg_u32 s26, 0
	s_cselect_b32 s26, s30, s27
	s_cselect_b32 s27, s31, s29
	s_cmp_lg_u64 s[24:25], 0
	s_subb_u32 s23, s23, s28
	s_cmp_ge_u32 s23, s13
	s_cselect_b32 s24, -1, 0
	s_cmp_ge_u32 s22, s12
	s_cselect_b32 s12, -1, 0
	s_cmp_eq_u32 s23, s13
	s_cselect_b32 s12, s12, s24
	s_cmp_lg_u32 s12, 0
	s_cselect_b32 s13, s27, s17
	s_cselect_b32 s12, s26, s11
	s_xor_b64 s[0:1], s[20:21], s[0:1]
	s_xor_b64 s[12:13], s[12:13], s[0:1]
	s_sub_u32 s0, s12, s0
	s_subb_u32 s1, s13, s1
	s_cbranch_execnz .LBB2_11
.LBB2_10:
	v_cvt_f32_u32_e32 v3, s14
	s_mov_b32 s0, 0
	s_sub_i32 s0, 0, s14
	v_rcp_iflag_f32_e32 v3, v3
	v_mul_f32_e32 v3, 0x4f7ffffe, v3
	v_cvt_u32_f32_e32 v3, v3
	v_readfirstlane_b32 s1, v3
	s_mul_i32 s0, s0, s1
	s_mul_hi_u32 s0, s1, s0
	s_add_i32 s1, s1, s0
	s_mul_hi_u32 s0, s16, s1
	s_mul_i32 s6, s0, s14
	s_sub_i32 s6, s16, s6
	s_add_i32 s1, s0, 1
	s_sub_i32 s7, s6, s14
	s_cmp_ge_u32 s6, s14
	s_cselect_b32 s0, s1, s0
	s_cselect_b32 s6, s7, s6
	s_add_i32 s1, s0, 1
	s_cmp_ge_u32 s6, s14
	s_cselect_b32 s0, s1, s0
.LBB2_11:
	v_mov_b32_e32 v3, s5
	v_sub_co_u32_e32 v6, vcc, s4, v4
	v_subb_co_u32_e32 v3, vcc, v3, v5, vcc
	v_mul_lo_u32 v3, v3, v4
	v_mul_lo_u32 v7, v6, v5
	v_mad_u64_u32 v[5:6], s[4:5], v6, v4, 0
	v_add_co_u32_e32 v2, vcc, v4, v2
	v_add3_u32 v6, v6, v7, v3
	v_ashrrev_i64 v[5:6], 1, v[5:6]
	v_sub_co_u32_e32 v5, vcc, v2, v5
	v_add_co_u32_e32 v2, vcc, s0, v4
.LBB2_12:
	s_andn2_saveexec_b64 s[2:3], s[2:3]
	s_cbranch_execz .LBB2_18
; %bb.13:
	s_waitcnt lgkmcnt(0)
	v_or_b32_e32 v3, s15, v1
	v_mov_b32_e32 v2, 0
	v_cmp_ne_u64_e32 vcc, 0, v[2:3]
                                        ; implicit-def: $vgpr2_vgpr3
	s_and_saveexec_b64 s[0:1], vcc
	s_xor_b64 s[4:5], exec, s[0:1]
	s_cbranch_execz .LBB2_15
; %bb.14:
	s_ashr_i32 s6, s15, 31
	s_add_u32 s0, s14, s6
	s_mov_b32 s7, s6
	s_addc_u32 s1, s15, s6
	s_xor_b64 s[12:13], s[0:1], s[6:7]
	v_cvt_f32_u32_e32 v2, s12
	v_cvt_f32_u32_e32 v3, s13
	s_sub_u32 s7, 0, s12
	s_subb_u32 s11, 0, s13
	v_ashrrev_i32_e32 v6, 31, v1
	v_madmk_f32 v2, v3, 0x4f800000, v2
	v_rcp_f32_e32 v2, v2
	v_mul_f32_e32 v2, 0x5f7ffffc, v2
	v_mul_f32_e32 v3, 0x2f800000, v2
	v_trunc_f32_e32 v3, v3
	v_madmk_f32 v2, v3, 0xcf800000, v2
	v_cvt_u32_f32_e32 v3, v3
	v_cvt_u32_f32_e32 v2, v2
	v_readfirstlane_b32 s15, v3
	v_readfirstlane_b32 s0, v2
	s_mul_i32 s1, s7, s15
	s_mul_hi_u32 s17, s7, s0
	s_mul_i32 s16, s11, s0
	s_add_i32 s1, s17, s1
	s_add_i32 s1, s1, s16
	s_mul_i32 s20, s7, s0
	s_mul_i32 s17, s0, s1
	s_mul_hi_u32 s21, s0, s20
	s_mul_hi_u32 s16, s0, s1
	s_add_u32 s17, s21, s17
	s_addc_u32 s16, 0, s16
	s_mul_hi_u32 s22, s15, s20
	s_mul_i32 s20, s15, s20
	s_add_u32 s17, s17, s20
	s_mul_hi_u32 s21, s15, s1
	s_addc_u32 s16, s16, s22
	s_addc_u32 s17, s21, 0
	s_mul_i32 s1, s15, s1
	s_add_u32 s1, s16, s1
	s_addc_u32 s16, 0, s17
	s_add_u32 s17, s0, s1
	s_cselect_b64 s[0:1], -1, 0
	s_cmp_lg_u64 s[0:1], 0
	s_addc_u32 s15, s15, s16
	s_mul_i32 s0, s7, s15
	s_mul_hi_u32 s1, s7, s17
	s_add_i32 s0, s1, s0
	s_mul_i32 s11, s11, s17
	s_add_i32 s0, s0, s11
	s_mul_i32 s7, s7, s17
	s_mul_hi_u32 s11, s15, s7
	s_mul_i32 s16, s15, s7
	s_mul_i32 s21, s17, s0
	s_mul_hi_u32 s7, s17, s7
	s_mul_hi_u32 s20, s17, s0
	s_add_u32 s7, s7, s21
	s_addc_u32 s20, 0, s20
	s_add_u32 s7, s7, s16
	s_mul_hi_u32 s1, s15, s0
	s_addc_u32 s7, s20, s11
	s_addc_u32 s1, s1, 0
	s_mul_i32 s0, s15, s0
	s_add_u32 s0, s7, s0
	s_addc_u32 s7, 0, s1
	s_add_u32 s11, s17, s0
	s_cselect_b64 s[0:1], -1, 0
	s_cmp_lg_u64 s[0:1], 0
	v_add_co_u32_e32 v2, vcc, v0, v6
	s_addc_u32 s7, s15, s7
	v_xor_b32_e32 v7, v2, v6
	v_mad_u64_u32 v[2:3], s[0:1], v7, s7, 0
	v_mul_hi_u32 v5, v7, s11
	v_addc_co_u32_e32 v4, vcc, v1, v6, vcc
	v_xor_b32_e32 v8, v4, v6
	v_add_co_u32_e32 v9, vcc, v5, v2
	v_addc_co_u32_e32 v10, vcc, 0, v3, vcc
	v_mad_u64_u32 v[2:3], s[0:1], v8, s11, 0
	v_mad_u64_u32 v[4:5], s[0:1], v8, s7, 0
	v_add_co_u32_e32 v2, vcc, v9, v2
	v_addc_co_u32_e32 v2, vcc, v10, v3, vcc
	v_addc_co_u32_e32 v3, vcc, 0, v5, vcc
	v_add_co_u32_e32 v4, vcc, v2, v4
	v_addc_co_u32_e32 v5, vcc, 0, v3, vcc
	v_mul_lo_u32 v9, s13, v4
	v_mul_lo_u32 v10, s12, v5
	v_mad_u64_u32 v[2:3], s[0:1], s12, v4, 0
	v_add3_u32 v3, v3, v10, v9
	v_sub_u32_e32 v9, v8, v3
	v_mov_b32_e32 v10, s13
	v_sub_co_u32_e32 v2, vcc, v7, v2
	v_subb_co_u32_e64 v7, s[0:1], v9, v10, vcc
	v_subrev_co_u32_e64 v9, s[0:1], s12, v2
	v_subbrev_co_u32_e64 v7, s[0:1], 0, v7, s[0:1]
	v_cmp_le_u32_e64 s[0:1], s13, v7
	v_cndmask_b32_e64 v10, 0, -1, s[0:1]
	v_cmp_le_u32_e64 s[0:1], s12, v9
	v_cndmask_b32_e64 v9, 0, -1, s[0:1]
	v_cmp_eq_u32_e64 s[0:1], s13, v7
	v_cndmask_b32_e64 v7, v10, v9, s[0:1]
	v_add_co_u32_e64 v9, s[0:1], 2, v4
	v_subb_co_u32_e32 v3, vcc, v8, v3, vcc
	v_addc_co_u32_e64 v10, s[0:1], 0, v5, s[0:1]
	v_cmp_le_u32_e32 vcc, s13, v3
	v_add_co_u32_e64 v11, s[0:1], 1, v4
	v_cndmask_b32_e64 v8, 0, -1, vcc
	v_cmp_le_u32_e32 vcc, s12, v2
	v_addc_co_u32_e64 v12, s[0:1], 0, v5, s[0:1]
	v_cndmask_b32_e64 v2, 0, -1, vcc
	v_cmp_eq_u32_e32 vcc, s13, v3
	v_cmp_ne_u32_e64 s[0:1], 0, v7
	v_cndmask_b32_e32 v2, v8, v2, vcc
	v_cndmask_b32_e64 v7, v12, v10, s[0:1]
	v_cmp_ne_u32_e32 vcc, 0, v2
	v_cndmask_b32_e64 v3, v11, v9, s[0:1]
	v_cndmask_b32_e32 v2, v5, v7, vcc
	v_cndmask_b32_e32 v3, v4, v3, vcc
	v_xor_b32_e32 v4, s6, v6
	v_xor_b32_e32 v5, v2, v4
	;; [unrolled: 1-line block ×3, first 2 shown]
	v_sub_co_u32_e32 v2, vcc, v2, v4
	v_subb_co_u32_e32 v3, vcc, v5, v4, vcc
.LBB2_15:
	s_andn2_saveexec_b64 s[0:1], s[4:5]
	s_cbranch_execz .LBB2_17
; %bb.16:
	v_cvt_f32_u32_e32 v2, s14
	s_sub_i32 s4, 0, s14
	v_rcp_iflag_f32_e32 v2, v2
	v_mul_f32_e32 v2, 0x4f7ffffe, v2
	v_cvt_u32_f32_e32 v2, v2
	v_mul_lo_u32 v3, s4, v2
	v_mul_hi_u32 v3, v2, v3
	v_add_u32_e32 v2, v2, v3
	v_mul_hi_u32 v2, v0, v2
	v_mul_lo_u32 v3, v2, s14
	v_add_u32_e32 v4, 1, v2
	v_sub_u32_e32 v3, v0, v3
	v_subrev_u32_e32 v5, s14, v3
	v_cmp_le_u32_e32 vcc, s14, v3
	v_cndmask_b32_e32 v3, v3, v5, vcc
	v_cndmask_b32_e32 v2, v2, v4, vcc
	v_add_u32_e32 v4, 1, v2
	v_cmp_le_u32_e32 vcc, s14, v3
	v_cndmask_b32_e32 v2, v2, v4, vcc
	v_mov_b32_e32 v3, 0
.LBB2_17:
	s_or_b64 exec, exec, s[0:1]
	v_mad_u64_u32 v[3:4], s[0:1], v2, s14, 0
	v_sub_co_u32_e32 v5, vcc, v0, v3
.LBB2_18:
	s_or_b64 exec, exec, s[2:3]
	v_lshlrev_b64 v[0:1], 2, v[0:1]
	s_waitcnt lgkmcnt(0)
	v_mov_b32_e32 v4, s9
	v_add_co_u32_e32 v0, vcc, s8, v0
	v_addc_co_u32_e32 v1, vcc, v4, v1, vcc
	s_lshl_b64 s[0:1], s[18:19], 2
	global_store_dword v[0:1], v2, off
	v_mov_b32_e32 v2, s1
	v_add_co_u32_e32 v0, vcc, s0, v0
	v_add_u32_e32 v3, s10, v5
	v_addc_co_u32_e32 v1, vcc, v1, v2, vcc
	global_store_dword v[0:1], v3, off
.LBB2_19:
	s_endpgm
.LBB2_20:
                                        ; implicit-def: $sgpr0_sgpr1
	s_branch .LBB2_10
	.section	.rodata,"a",@progbits
	.p2align	6, 0x0
	.amdhsa_kernel _ZN2at6native19triu_indices_kernelIiEEvPT_lllll
		.amdhsa_group_segment_fixed_size 0
		.amdhsa_private_segment_fixed_size 0
		.amdhsa_kernarg_size 304
		.amdhsa_user_sgpr_count 6
		.amdhsa_user_sgpr_private_segment_buffer 1
		.amdhsa_user_sgpr_dispatch_ptr 0
		.amdhsa_user_sgpr_queue_ptr 0
		.amdhsa_user_sgpr_kernarg_segment_ptr 1
		.amdhsa_user_sgpr_dispatch_id 0
		.amdhsa_user_sgpr_flat_scratch_init 0
		.amdhsa_user_sgpr_private_segment_size 0
		.amdhsa_uses_dynamic_stack 0
		.amdhsa_system_sgpr_private_segment_wavefront_offset 0
		.amdhsa_system_sgpr_workgroup_id_x 1
		.amdhsa_system_sgpr_workgroup_id_y 0
		.amdhsa_system_sgpr_workgroup_id_z 0
		.amdhsa_system_sgpr_workgroup_info 0
		.amdhsa_system_vgpr_workitem_id 0
		.amdhsa_next_free_vgpr 19
		.amdhsa_next_free_sgpr 32
		.amdhsa_reserve_vcc 1
		.amdhsa_reserve_flat_scratch 0
		.amdhsa_float_round_mode_32 0
		.amdhsa_float_round_mode_16_64 0
		.amdhsa_float_denorm_mode_32 3
		.amdhsa_float_denorm_mode_16_64 3
		.amdhsa_dx10_clamp 1
		.amdhsa_ieee_mode 1
		.amdhsa_fp16_overflow 0
		.amdhsa_exception_fp_ieee_invalid_op 0
		.amdhsa_exception_fp_denorm_src 0
		.amdhsa_exception_fp_ieee_div_zero 0
		.amdhsa_exception_fp_ieee_overflow 0
		.amdhsa_exception_fp_ieee_underflow 0
		.amdhsa_exception_fp_ieee_inexact 0
		.amdhsa_exception_int_div_zero 0
	.end_amdhsa_kernel
	.section	.text._ZN2at6native19triu_indices_kernelIiEEvPT_lllll,"axG",@progbits,_ZN2at6native19triu_indices_kernelIiEEvPT_lllll,comdat
.Lfunc_end2:
	.size	_ZN2at6native19triu_indices_kernelIiEEvPT_lllll, .Lfunc_end2-_ZN2at6native19triu_indices_kernelIiEEvPT_lllll
                                        ; -- End function
	.set _ZN2at6native19triu_indices_kernelIiEEvPT_lllll.num_vgpr, 19
	.set _ZN2at6native19triu_indices_kernelIiEEvPT_lllll.num_agpr, 0
	.set _ZN2at6native19triu_indices_kernelIiEEvPT_lllll.numbered_sgpr, 32
	.set _ZN2at6native19triu_indices_kernelIiEEvPT_lllll.num_named_barrier, 0
	.set _ZN2at6native19triu_indices_kernelIiEEvPT_lllll.private_seg_size, 0
	.set _ZN2at6native19triu_indices_kernelIiEEvPT_lllll.uses_vcc, 1
	.set _ZN2at6native19triu_indices_kernelIiEEvPT_lllll.uses_flat_scratch, 0
	.set _ZN2at6native19triu_indices_kernelIiEEvPT_lllll.has_dyn_sized_stack, 0
	.set _ZN2at6native19triu_indices_kernelIiEEvPT_lllll.has_recursion, 0
	.set _ZN2at6native19triu_indices_kernelIiEEvPT_lllll.has_indirect_call, 0
	.section	.AMDGPU.csdata,"",@progbits
; Kernel info:
; codeLenInByte = 2452
; TotalNumSgprs: 36
; NumVgprs: 19
; ScratchSize: 0
; MemoryBound: 0
; FloatMode: 240
; IeeeMode: 1
; LDSByteSize: 0 bytes/workgroup (compile time only)
; SGPRBlocks: 4
; VGPRBlocks: 4
; NumSGPRsForWavesPerEU: 36
; NumVGPRsForWavesPerEU: 19
; Occupancy: 10
; WaveLimiterHint : 0
; COMPUTE_PGM_RSRC2:SCRATCH_EN: 0
; COMPUTE_PGM_RSRC2:USER_SGPR: 6
; COMPUTE_PGM_RSRC2:TRAP_HANDLER: 0
; COMPUTE_PGM_RSRC2:TGID_X_EN: 1
; COMPUTE_PGM_RSRC2:TGID_Y_EN: 0
; COMPUTE_PGM_RSRC2:TGID_Z_EN: 0
; COMPUTE_PGM_RSRC2:TIDIG_COMP_CNT: 0
	.section	.text._ZN2at6native19triu_indices_kernelIlEEvPT_lllll,"axG",@progbits,_ZN2at6native19triu_indices_kernelIlEEvPT_lllll,comdat
	.protected	_ZN2at6native19triu_indices_kernelIlEEvPT_lllll ; -- Begin function _ZN2at6native19triu_indices_kernelIlEEvPT_lllll
	.globl	_ZN2at6native19triu_indices_kernelIlEEvPT_lllll
	.p2align	8
	.type	_ZN2at6native19triu_indices_kernelIlEEvPT_lllll,@function
_ZN2at6native19triu_indices_kernelIlEEvPT_lllll: ; @_ZN2at6native19triu_indices_kernelIlEEvPT_lllll
; %bb.0:
	s_load_dword s0, s[4:5], 0x3c
	s_load_dwordx4 s[16:19], s[4:5], 0x20
	v_mov_b32_e32 v1, 0
	v_mov_b32_e32 v2, s6
	s_waitcnt lgkmcnt(0)
	s_and_b32 s0, s0, 0xffff
	v_mad_u64_u32 v[0:1], s[0:1], s0, v2, v[0:1]
	v_cmp_gt_i64_e32 vcc, s[18:19], v[0:1]
	s_and_saveexec_b64 s[0:1], vcc
	s_cbranch_execz .LBB3_19
; %bb.1:
	s_load_dwordx8 s[8:15], s[4:5], 0x0
	v_cmp_le_i64_e32 vcc, s[16:17], v[0:1]
                                        ; implicit-def: $vgpr6_vgpr7
                                        ; implicit-def: $vgpr2_vgpr3
	s_and_saveexec_b64 s[0:1], vcc
	s_xor_b64 s[2:3], exec, s[0:1]
	s_cbranch_execz .LBB3_12
; %bb.2:
	s_waitcnt lgkmcnt(0)
	s_lshl_b64 s[4:5], s[12:13], 1
	v_mov_b32_e32 v3, s17
	v_subrev_co_u32_e32 v2, vcc, s16, v0
	s_not_b64 s[0:1], s[4:5]
	v_subb_co_u32_e32 v3, vcc, v1, v3, vcc
	s_mul_i32 s1, s0, s1
	s_mul_hi_u32 s6, s0, s0
	v_lshlrev_b64 v[4:5], 3, v[2:3]
	s_add_i32 s6, s6, s1
	s_add_i32 s1, s6, s1
	s_mul_i32 s0, s0, s0
	v_mov_b32_e32 v7, s1
	v_sub_co_u32_e32 v6, vcc, s0, v4
	v_subb_co_u32_e32 v7, vcc, v7, v5, vcc
	v_cvt_f64_i32_e32 v[4:5], v7
	v_cvt_f64_u32_e32 v[8:9], v6
	s_mov_b32 s0, 0
	s_brev_b32 s1, 8
	v_ldexp_f64 v[4:5], v[4:5], 32
	v_mov_b32_e32 v10, 0x100
	v_cvt_f64_i32_e32 v[15:16], s5
	s_or_b32 s4, s4, 1
	s_movk_i32 s7, 0xffe0
	s_mov_b32 s20, 0
	s_mov_b32 s21, 0xc1f00000
	;; [unrolled: 1-line block ×3, first 2 shown]
	v_add_f64 v[4:5], v[4:5], v[8:9]
	v_cmp_gt_f64_e32 vcc, s[0:1], v[4:5]
	v_cndmask_b32_e32 v8, 0, v10, vcc
	v_ldexp_f64 v[4:5], v[4:5], v8
	v_rsq_f64_e32 v[8:9], v[4:5]
	v_mul_f64 v[11:12], v[4:5], v[8:9]
	v_mul_f64 v[8:9], v[8:9], 0.5
	v_fma_f64 v[13:14], -v[8:9], v[11:12], 0.5
	v_fma_f64 v[11:12], v[11:12], v[13:14], v[11:12]
	v_fma_f64 v[8:9], v[8:9], v[13:14], v[8:9]
	v_fma_f64 v[13:14], -v[11:12], v[11:12], v[4:5]
	v_fma_f64 v[11:12], v[13:14], v[8:9], v[11:12]
	v_fma_f64 v[13:14], -v[11:12], v[11:12], v[4:5]
	v_fma_f64 v[8:9], v[13:14], v[8:9], v[11:12]
	v_ldexp_f64 v[13:14], v[15:16], 32
	v_cvt_f64_u32_e32 v[15:16], s4
	v_mov_b32_e32 v12, 0xffffff80
	v_mov_b32_e32 v11, 0x260
	v_cndmask_b32_e32 v17, 0, v12, vcc
	v_cmp_class_f64_e32 vcc, v[4:5], v11
	v_ldexp_f64 v[8:9], v[8:9], v17
	v_add_f64 v[13:14], v[13:14], v[15:16]
	v_cndmask_b32_e32 v9, v9, v5, vcc
	v_cndmask_b32_e32 v8, v8, v4, vcc
	v_add_f64 v[4:5], v[13:14], -v[8:9]
	v_mul_f64 v[13:14], v[8:9], v[8:9]
	v_mul_f64 v[4:5], v[4:5], 0.5
	v_trunc_f64_e32 v[13:14], v[13:14]
	v_floor_f64_e32 v[4:5], v[4:5]
	v_ldexp_f64 v[15:16], v[13:14], s7
	v_ldexp_f64 v[17:18], v[4:5], s7
	v_floor_f64_e32 v[15:16], v[15:16]
	v_floor_f64_e32 v[17:18], v[17:18]
	v_fma_f64 v[13:14], v[15:16], s[20:21], v[13:14]
	v_cvt_i32_f64_e32 v15, v[15:16]
	v_fma_f64 v[4:5], v[17:18], s[20:21], v[4:5]
	v_cvt_u32_f64_e32 v14, v[13:14]
	v_cmp_ne_u64_e32 vcc, v[6:7], v[14:15]
	v_cvt_u32_f64_e32 v4, v[4:5]
	v_cvt_i32_f64_e32 v5, v[17:18]
	s_and_saveexec_b64 s[12:13], vcc
	s_cbranch_execz .LBB3_8
; %bb.3:
	v_floor_f64_e32 v[8:9], v[8:9]
	v_ldexp_f64 v[13:14], v[8:9], s7
	v_floor_f64_e32 v[13:14], v[13:14]
	v_fma_f64 v[8:9], v[13:14], s[20:21], v[8:9]
	v_cvt_i32_f64_e32 v13, v[13:14]
	v_cvt_u32_f64_e32 v8, v[8:9]
	v_mul_lo_u32 v13, v8, v13
	v_mad_u64_u32 v[8:9], s[22:23], v8, v8, 0
	v_add3_u32 v9, v9, v13, v13
	v_sub_co_u32_e32 v8, vcc, v6, v8
	v_subb_co_u32_e32 v6, vcc, v7, v9, vcc
	v_cvt_f64_i32_e32 v[6:7], v6
	v_cvt_f64_u32_e32 v[8:9], v8
	v_ldexp_f64 v[6:7], v[6:7], 32
	v_add_f64 v[6:7], v[6:7], v[8:9]
	v_cmp_lt_f64_e64 vcc, |v[6:7]|, s[0:1]
	v_cndmask_b32_e32 v8, 0, v10, vcc
	v_ldexp_f64 v[6:7], |v[6:7]|, v8
	v_cndmask_b32_e32 v10, 0, v12, vcc
	v_rsq_f64_e32 v[8:9], v[6:7]
	v_cmp_class_f64_e32 vcc, v[6:7], v11
	v_mul_f64 v[13:14], v[6:7], v[8:9]
	v_mul_f64 v[8:9], v[8:9], 0.5
	v_fma_f64 v[15:16], -v[8:9], v[13:14], 0.5
	v_fma_f64 v[13:14], v[13:14], v[15:16], v[13:14]
	v_fma_f64 v[8:9], v[8:9], v[15:16], v[8:9]
	v_fma_f64 v[15:16], -v[13:14], v[13:14], v[6:7]
	v_fma_f64 v[13:14], v[15:16], v[8:9], v[13:14]
	v_fma_f64 v[15:16], -v[13:14], v[13:14], v[6:7]
	v_fma_f64 v[8:9], v[15:16], v[8:9], v[13:14]
	v_ldexp_f64 v[8:9], v[8:9], v10
	v_cndmask_b32_e32 v7, v9, v7, vcc
	v_cndmask_b32_e32 v6, v8, v6, vcc
	v_ceil_f64_e32 v[6:7], v[6:7]
	v_ldexp_f64 v[8:9], v[6:7], s7
	v_floor_f64_e32 v[8:9], v[8:9]
	v_fma_f64 v[6:7], v[8:9], s[20:21], v[6:7]
	v_cvt_u32_f64_e32 v6, v[6:7]
	v_cvt_i32_f64_e32 v7, v[8:9]
	v_sub_co_u32_e32 v8, vcc, v4, v6
	v_subb_co_u32_e32 v9, vcc, v5, v7, vcc
	v_add_co_u32_e32 v10, vcc, v4, v6
	v_addc_co_u32_e32 v11, vcc, v5, v7, vcc
	v_cmp_gt_i64_e32 vcc, v[4:5], v[6:7]
	v_add_co_u32_e64 v6, s[0:1], 1, v10
	v_cndmask_b32_e32 v4, 0, v8, vcc
	v_cndmask_b32_e32 v5, 0, v9, vcc
	v_add_co_u32_e32 v8, vcc, 1, v4
	v_addc_co_u32_e64 v7, s[0:1], 0, v11, s[0:1]
	v_addc_co_u32_e32 v9, vcc, 0, v5, vcc
	v_cmp_lt_i64_e32 vcc, v[8:9], v[6:7]
	s_and_saveexec_b64 s[0:1], vcc
	s_cbranch_execz .LBB3_7
; %bb.4:
	v_lshlrev_b64 v[8:9], 1, v[2:3]
	s_mov_b64 s[20:21], 0
.LBB3_5:                                ; =>This Inner Loop Header: Depth=1
	v_add_co_u32_e32 v10, vcc, v4, v6
	v_addc_co_u32_e32 v11, vcc, v5, v7, vcc
	v_ashrrev_i64 v[10:11], 1, v[10:11]
	v_mov_b32_e32 v12, s5
	v_sub_co_u32_e32 v13, vcc, s4, v10
	v_subb_co_u32_e32 v12, vcc, v12, v11, vcc
	v_mul_lo_u32 v14, v12, v10
	v_mul_lo_u32 v15, v13, v11
	v_mad_u64_u32 v[12:13], s[22:23], v13, v10, 0
	v_add3_u32 v13, v13, v15, v14
	v_cmp_gt_i64_e32 vcc, v[12:13], v[8:9]
	v_cndmask_b32_e32 v4, v10, v4, vcc
	v_cndmask_b32_e32 v5, v11, v5, vcc
	;; [unrolled: 1-line block ×4, first 2 shown]
	v_add_co_u32_e32 v10, vcc, 1, v4
	v_addc_co_u32_e32 v11, vcc, 0, v5, vcc
	v_cmp_ge_i64_e32 vcc, v[10:11], v[6:7]
	s_or_b64 s[20:21], vcc, s[20:21]
	s_andn2_b64 exec, exec, s[20:21]
	s_cbranch_execnz .LBB3_5
; %bb.6:
	s_or_b64 exec, exec, s[20:21]
.LBB3_7:
	s_or_b64 exec, exec, s[0:1]
.LBB3_8:
	s_or_b64 exec, exec, s[12:13]
	s_or_b64 s[0:1], s[16:17], s[14:15]
	s_mov_b32 s7, s1
	s_cmp_lg_u64 s[6:7], 0
	s_cbranch_scc0 .LBB3_20
; %bb.9:
	s_ashr_i32 s0, s15, 31
	s_add_u32 s6, s14, s0
	s_mov_b32 s1, s0
	s_addc_u32 s7, s15, s0
	s_xor_b64 s[12:13], s[6:7], s[0:1]
	v_cvt_f32_u32_e32 v6, s12
	v_cvt_f32_u32_e32 v7, s13
	s_sub_u32 s22, 0, s12
	s_subb_u32 s23, 0, s13
	v_madmk_f32 v6, v7, 0x4f800000, v6
	v_rcp_f32_e32 v6, v6
	v_mul_f32_e32 v6, 0x5f7ffffc, v6
	v_mul_f32_e32 v7, 0x2f800000, v6
	v_trunc_f32_e32 v7, v7
	v_madmk_f32 v6, v7, 0xcf800000, v6
	v_cvt_u32_f32_e32 v7, v7
	v_cvt_u32_f32_e32 v6, v6
	v_readfirstlane_b32 s24, v7
	v_readfirstlane_b32 s20, v6
	s_mul_i32 s21, s22, s24
	s_mul_hi_u32 s26, s22, s20
	s_mul_i32 s25, s23, s20
	s_add_i32 s21, s26, s21
	s_add_i32 s21, s21, s25
	s_mul_i32 s27, s22, s20
	s_mul_i32 s26, s20, s21
	s_mul_hi_u32 s28, s20, s27
	s_mul_hi_u32 s25, s20, s21
	s_add_u32 s26, s28, s26
	s_addc_u32 s25, 0, s25
	s_mul_hi_u32 s29, s24, s27
	s_mul_i32 s27, s24, s27
	s_add_u32 s26, s26, s27
	s_mul_hi_u32 s28, s24, s21
	s_addc_u32 s25, s25, s29
	s_addc_u32 s26, s28, 0
	s_mul_i32 s21, s24, s21
	s_add_u32 s21, s25, s21
	s_addc_u32 s25, 0, s26
	s_add_u32 s26, s20, s21
	s_cselect_b64 s[20:21], -1, 0
	s_cmp_lg_u64 s[20:21], 0
	s_addc_u32 s24, s24, s25
	s_mul_i32 s20, s22, s24
	s_mul_hi_u32 s21, s22, s26
	s_add_i32 s20, s21, s20
	s_mul_i32 s23, s23, s26
	s_add_i32 s20, s20, s23
	s_mul_i32 s22, s22, s26
	s_mul_hi_u32 s23, s24, s22
	s_mul_i32 s25, s24, s22
	s_mul_i32 s28, s26, s20
	s_mul_hi_u32 s22, s26, s22
	s_mul_hi_u32 s27, s26, s20
	s_add_u32 s22, s22, s28
	s_addc_u32 s27, 0, s27
	s_add_u32 s22, s22, s25
	s_mul_hi_u32 s21, s24, s20
	s_addc_u32 s22, s27, s23
	s_addc_u32 s21, s21, 0
	s_mul_i32 s20, s24, s20
	s_add_u32 s20, s22, s20
	s_addc_u32 s22, 0, s21
	s_add_u32 s25, s26, s20
	s_cselect_b64 s[20:21], -1, 0
	s_cmp_lg_u64 s[20:21], 0
	s_addc_u32 s24, s24, s22
	s_ashr_i32 s20, s17, 31
	s_add_u32 s22, s16, s20
	s_mov_b32 s21, s20
	s_addc_u32 s23, s17, s20
	s_xor_b64 s[22:23], s[22:23], s[20:21]
	s_mul_i32 s26, s22, s24
	s_mul_hi_u32 s27, s22, s25
	s_mul_hi_u32 s17, s22, s24
	s_add_u32 s26, s27, s26
	s_addc_u32 s17, 0, s17
	s_mul_hi_u32 s28, s23, s25
	s_mul_i32 s25, s23, s25
	s_add_u32 s25, s26, s25
	s_mul_hi_u32 s27, s23, s24
	s_addc_u32 s17, s17, s28
	s_addc_u32 s25, s27, 0
	s_mul_i32 s24, s23, s24
	s_add_u32 s17, s17, s24
	s_addc_u32 s28, 0, s25
	s_mul_i32 s24, s12, s28
	s_mul_hi_u32 s25, s12, s17
	s_add_i32 s24, s25, s24
	s_mul_i32 s25, s13, s17
	s_add_i32 s29, s24, s25
	s_sub_i32 s26, s23, s29
	s_mul_i32 s24, s12, s17
	s_sub_u32 s22, s22, s24
	s_cselect_b64 s[24:25], -1, 0
	s_cmp_lg_u64 s[24:25], 0
	s_subb_u32 s30, s26, s13
	s_sub_u32 s31, s22, s12
	s_cselect_b64 s[26:27], -1, 0
	s_cmp_lg_u64 s[26:27], 0
	s_subb_u32 s26, s30, 0
	s_cmp_ge_u32 s26, s13
	s_cselect_b32 s27, -1, 0
	s_cmp_ge_u32 s31, s12
	s_cselect_b32 s30, -1, 0
	s_cmp_eq_u32 s26, s13
	s_cselect_b32 s26, s30, s27
	s_add_u32 s27, s17, 1
	s_addc_u32 s30, s28, 0
	s_add_u32 s31, s17, 2
	s_addc_u32 s33, s28, 0
	s_cmp_lg_u32 s26, 0
	s_cselect_b32 s26, s31, s27
	s_cselect_b32 s27, s33, s30
	s_cmp_lg_u64 s[24:25], 0
	s_subb_u32 s23, s23, s29
	s_cmp_ge_u32 s23, s13
	s_cselect_b32 s24, -1, 0
	s_cmp_ge_u32 s22, s12
	s_cselect_b32 s12, -1, 0
	s_cmp_eq_u32 s23, s13
	s_cselect_b32 s12, s12, s24
	s_cmp_lg_u32 s12, 0
	s_cselect_b32 s13, s27, s28
	s_cselect_b32 s12, s26, s17
	s_xor_b64 s[0:1], s[20:21], s[0:1]
	s_xor_b64 s[12:13], s[12:13], s[0:1]
	s_sub_u32 s0, s12, s0
	s_subb_u32 s1, s13, s1
	s_cbranch_execnz .LBB3_11
.LBB3_10:
	v_cvt_f32_u32_e32 v6, s14
	s_sub_i32 s0, 0, s14
	s_mov_b32 s1, 0
	v_rcp_iflag_f32_e32 v6, v6
	v_mul_f32_e32 v6, 0x4f7ffffe, v6
	v_cvt_u32_f32_e32 v6, v6
	v_readfirstlane_b32 s6, v6
	s_mul_i32 s0, s0, s6
	s_mul_hi_u32 s0, s6, s0
	s_add_i32 s6, s6, s0
	s_mul_hi_u32 s0, s16, s6
	s_mul_i32 s7, s0, s14
	s_sub_i32 s7, s16, s7
	s_add_i32 s6, s0, 1
	s_sub_i32 s12, s7, s14
	s_cmp_ge_u32 s7, s14
	s_cselect_b32 s0, s6, s0
	s_cselect_b32 s7, s12, s7
	s_add_i32 s6, s0, 1
	s_cmp_ge_u32 s7, s14
	s_cselect_b32 s0, s6, s0
.LBB3_11:
	v_mov_b32_e32 v6, s5
	v_sub_co_u32_e32 v7, vcc, s4, v4
	v_subb_co_u32_e32 v6, vcc, v6, v5, vcc
	v_mul_lo_u32 v8, v6, v4
	v_mul_lo_u32 v9, v7, v5
	v_mad_u64_u32 v[6:7], s[4:5], v7, v4, 0
	v_add_co_u32_e32 v2, vcc, v4, v2
	v_add3_u32 v7, v7, v9, v8
	v_ashrrev_i64 v[6:7], 1, v[6:7]
	v_addc_co_u32_e32 v3, vcc, v5, v3, vcc
	v_sub_co_u32_e32 v6, vcc, v2, v6
	v_subb_co_u32_e32 v7, vcc, v3, v7, vcc
	v_mov_b32_e32 v3, s1
	v_add_co_u32_e32 v2, vcc, s0, v4
	v_addc_co_u32_e32 v3, vcc, v3, v5, vcc
.LBB3_12:
	s_andn2_saveexec_b64 s[2:3], s[2:3]
	s_cbranch_execz .LBB3_18
; %bb.13:
	s_waitcnt lgkmcnt(0)
	v_or_b32_e32 v3, s15, v1
	v_mov_b32_e32 v2, 0
	v_cmp_ne_u64_e32 vcc, 0, v[2:3]
                                        ; implicit-def: $vgpr2_vgpr3
	s_and_saveexec_b64 s[0:1], vcc
	s_xor_b64 s[4:5], exec, s[0:1]
	s_cbranch_execz .LBB3_15
; %bb.14:
	s_ashr_i32 s6, s15, 31
	s_add_u32 s0, s14, s6
	s_mov_b32 s7, s6
	s_addc_u32 s1, s15, s6
	s_xor_b64 s[12:13], s[0:1], s[6:7]
	v_cvt_f32_u32_e32 v2, s12
	v_cvt_f32_u32_e32 v3, s13
	s_sub_u32 s7, 0, s12
	s_subb_u32 s16, 0, s13
	v_ashrrev_i32_e32 v6, 31, v1
	v_madmk_f32 v2, v3, 0x4f800000, v2
	v_rcp_f32_e32 v2, v2
	v_mul_f32_e32 v2, 0x5f7ffffc, v2
	v_mul_f32_e32 v3, 0x2f800000, v2
	v_trunc_f32_e32 v3, v3
	v_madmk_f32 v2, v3, 0xcf800000, v2
	v_cvt_u32_f32_e32 v3, v3
	v_cvt_u32_f32_e32 v2, v2
	v_readfirstlane_b32 s17, v3
	v_readfirstlane_b32 s0, v2
	s_mul_i32 s1, s7, s17
	s_mul_hi_u32 s21, s7, s0
	s_mul_i32 s20, s16, s0
	s_add_i32 s1, s21, s1
	s_add_i32 s1, s1, s20
	s_mul_i32 s22, s7, s0
	s_mul_i32 s21, s0, s1
	s_mul_hi_u32 s23, s0, s22
	s_mul_hi_u32 s20, s0, s1
	s_add_u32 s21, s23, s21
	s_addc_u32 s20, 0, s20
	s_mul_hi_u32 s24, s17, s22
	s_mul_i32 s22, s17, s22
	s_add_u32 s21, s21, s22
	s_mul_hi_u32 s23, s17, s1
	s_addc_u32 s20, s20, s24
	s_addc_u32 s21, s23, 0
	s_mul_i32 s1, s17, s1
	s_add_u32 s1, s20, s1
	s_addc_u32 s20, 0, s21
	s_add_u32 s21, s0, s1
	s_cselect_b64 s[0:1], -1, 0
	s_cmp_lg_u64 s[0:1], 0
	s_addc_u32 s17, s17, s20
	s_mul_i32 s0, s7, s17
	s_mul_hi_u32 s1, s7, s21
	s_add_i32 s0, s1, s0
	s_mul_i32 s16, s16, s21
	s_add_i32 s0, s0, s16
	s_mul_i32 s7, s7, s21
	s_mul_hi_u32 s16, s17, s7
	s_mul_i32 s20, s17, s7
	s_mul_i32 s23, s21, s0
	s_mul_hi_u32 s7, s21, s7
	s_mul_hi_u32 s22, s21, s0
	s_add_u32 s7, s7, s23
	s_addc_u32 s22, 0, s22
	s_add_u32 s7, s7, s20
	s_mul_hi_u32 s1, s17, s0
	s_addc_u32 s7, s22, s16
	s_addc_u32 s1, s1, 0
	s_mul_i32 s0, s17, s0
	s_add_u32 s0, s7, s0
	s_addc_u32 s7, 0, s1
	s_add_u32 s16, s21, s0
	s_cselect_b64 s[0:1], -1, 0
	s_cmp_lg_u64 s[0:1], 0
	v_add_co_u32_e32 v2, vcc, v0, v6
	s_addc_u32 s7, s17, s7
	v_xor_b32_e32 v7, v2, v6
	v_mad_u64_u32 v[2:3], s[0:1], v7, s7, 0
	v_mul_hi_u32 v5, v7, s16
	v_addc_co_u32_e32 v4, vcc, v1, v6, vcc
	v_xor_b32_e32 v8, v4, v6
	v_add_co_u32_e32 v9, vcc, v5, v2
	v_addc_co_u32_e32 v10, vcc, 0, v3, vcc
	v_mad_u64_u32 v[2:3], s[0:1], v8, s16, 0
	v_mad_u64_u32 v[4:5], s[0:1], v8, s7, 0
	v_add_co_u32_e32 v2, vcc, v9, v2
	v_addc_co_u32_e32 v2, vcc, v10, v3, vcc
	v_addc_co_u32_e32 v3, vcc, 0, v5, vcc
	v_add_co_u32_e32 v4, vcc, v2, v4
	v_addc_co_u32_e32 v5, vcc, 0, v3, vcc
	v_mul_lo_u32 v9, s13, v4
	v_mul_lo_u32 v10, s12, v5
	v_mad_u64_u32 v[2:3], s[0:1], s12, v4, 0
	v_add3_u32 v3, v3, v10, v9
	v_sub_u32_e32 v9, v8, v3
	v_mov_b32_e32 v10, s13
	v_sub_co_u32_e32 v2, vcc, v7, v2
	v_subb_co_u32_e64 v7, s[0:1], v9, v10, vcc
	v_subrev_co_u32_e64 v9, s[0:1], s12, v2
	v_subbrev_co_u32_e64 v7, s[0:1], 0, v7, s[0:1]
	v_cmp_le_u32_e64 s[0:1], s13, v7
	v_cndmask_b32_e64 v10, 0, -1, s[0:1]
	v_cmp_le_u32_e64 s[0:1], s12, v9
	v_cndmask_b32_e64 v9, 0, -1, s[0:1]
	v_cmp_eq_u32_e64 s[0:1], s13, v7
	v_cndmask_b32_e64 v7, v10, v9, s[0:1]
	v_add_co_u32_e64 v9, s[0:1], 2, v4
	v_subb_co_u32_e32 v3, vcc, v8, v3, vcc
	v_addc_co_u32_e64 v10, s[0:1], 0, v5, s[0:1]
	v_cmp_le_u32_e32 vcc, s13, v3
	v_add_co_u32_e64 v11, s[0:1], 1, v4
	v_cndmask_b32_e64 v8, 0, -1, vcc
	v_cmp_le_u32_e32 vcc, s12, v2
	v_addc_co_u32_e64 v12, s[0:1], 0, v5, s[0:1]
	v_cndmask_b32_e64 v2, 0, -1, vcc
	v_cmp_eq_u32_e32 vcc, s13, v3
	v_cmp_ne_u32_e64 s[0:1], 0, v7
	v_cndmask_b32_e32 v2, v8, v2, vcc
	v_cndmask_b32_e64 v7, v12, v10, s[0:1]
	v_cmp_ne_u32_e32 vcc, 0, v2
	v_cndmask_b32_e64 v3, v11, v9, s[0:1]
	v_cndmask_b32_e32 v2, v5, v7, vcc
	v_cndmask_b32_e32 v3, v4, v3, vcc
	v_xor_b32_e32 v4, s6, v6
	v_xor_b32_e32 v5, v2, v4
	;; [unrolled: 1-line block ×3, first 2 shown]
	v_sub_co_u32_e32 v2, vcc, v2, v4
	v_subb_co_u32_e32 v3, vcc, v5, v4, vcc
.LBB3_15:
	s_andn2_saveexec_b64 s[0:1], s[4:5]
	s_cbranch_execz .LBB3_17
; %bb.16:
	v_cvt_f32_u32_e32 v2, s14
	s_sub_i32 s4, 0, s14
	v_rcp_iflag_f32_e32 v2, v2
	v_mul_f32_e32 v2, 0x4f7ffffe, v2
	v_cvt_u32_f32_e32 v2, v2
	v_mul_lo_u32 v3, s4, v2
	v_mul_hi_u32 v3, v2, v3
	v_add_u32_e32 v2, v2, v3
	v_mul_hi_u32 v2, v0, v2
	v_mul_lo_u32 v3, v2, s14
	v_add_u32_e32 v4, 1, v2
	v_sub_u32_e32 v3, v0, v3
	v_subrev_u32_e32 v5, s14, v3
	v_cmp_le_u32_e32 vcc, s14, v3
	v_cndmask_b32_e32 v3, v3, v5, vcc
	v_cndmask_b32_e32 v2, v2, v4, vcc
	v_add_u32_e32 v4, 1, v2
	v_cmp_le_u32_e32 vcc, s14, v3
	v_cndmask_b32_e32 v2, v2, v4, vcc
	v_mov_b32_e32 v3, 0
.LBB3_17:
	s_or_b64 exec, exec, s[0:1]
	v_mul_lo_u32 v6, v3, s14
	v_mul_lo_u32 v7, v2, s15
	v_mad_u64_u32 v[4:5], s[0:1], v2, s14, 0
	v_add3_u32 v5, v5, v7, v6
	v_sub_co_u32_e32 v6, vcc, v0, v4
	v_subb_co_u32_e32 v7, vcc, v1, v5, vcc
.LBB3_18:
	s_or_b64 exec, exec, s[2:3]
	s_waitcnt lgkmcnt(0)
	v_mov_b32_e32 v5, s11
	v_add_co_u32_e32 v4, vcc, s10, v6
	v_lshlrev_b64 v[0:1], 3, v[0:1]
	v_addc_co_u32_e32 v5, vcc, v7, v5, vcc
	v_mov_b32_e32 v6, s9
	v_add_co_u32_e32 v0, vcc, s8, v0
	v_addc_co_u32_e32 v1, vcc, v6, v1, vcc
	s_lshl_b64 s[0:1], s[18:19], 3
	global_store_dwordx2 v[0:1], v[2:3], off
	v_mov_b32_e32 v2, s1
	v_add_co_u32_e32 v0, vcc, s0, v0
	v_addc_co_u32_e32 v1, vcc, v1, v2, vcc
	global_store_dwordx2 v[0:1], v[4:5], off
.LBB3_19:
	s_endpgm
.LBB3_20:
                                        ; implicit-def: $sgpr0_sgpr1
	s_branch .LBB3_10
	.section	.rodata,"a",@progbits
	.p2align	6, 0x0
	.amdhsa_kernel _ZN2at6native19triu_indices_kernelIlEEvPT_lllll
		.amdhsa_group_segment_fixed_size 0
		.amdhsa_private_segment_fixed_size 0
		.amdhsa_kernarg_size 304
		.amdhsa_user_sgpr_count 6
		.amdhsa_user_sgpr_private_segment_buffer 1
		.amdhsa_user_sgpr_dispatch_ptr 0
		.amdhsa_user_sgpr_queue_ptr 0
		.amdhsa_user_sgpr_kernarg_segment_ptr 1
		.amdhsa_user_sgpr_dispatch_id 0
		.amdhsa_user_sgpr_flat_scratch_init 0
		.amdhsa_user_sgpr_private_segment_size 0
		.amdhsa_uses_dynamic_stack 0
		.amdhsa_system_sgpr_private_segment_wavefront_offset 0
		.amdhsa_system_sgpr_workgroup_id_x 1
		.amdhsa_system_sgpr_workgroup_id_y 0
		.amdhsa_system_sgpr_workgroup_id_z 0
		.amdhsa_system_sgpr_workgroup_info 0
		.amdhsa_system_vgpr_workitem_id 0
		.amdhsa_next_free_vgpr 19
		.amdhsa_next_free_sgpr 34
		.amdhsa_reserve_vcc 1
		.amdhsa_reserve_flat_scratch 0
		.amdhsa_float_round_mode_32 0
		.amdhsa_float_round_mode_16_64 0
		.amdhsa_float_denorm_mode_32 3
		.amdhsa_float_denorm_mode_16_64 3
		.amdhsa_dx10_clamp 1
		.amdhsa_ieee_mode 1
		.amdhsa_fp16_overflow 0
		.amdhsa_exception_fp_ieee_invalid_op 0
		.amdhsa_exception_fp_denorm_src 0
		.amdhsa_exception_fp_ieee_div_zero 0
		.amdhsa_exception_fp_ieee_overflow 0
		.amdhsa_exception_fp_ieee_underflow 0
		.amdhsa_exception_fp_ieee_inexact 0
		.amdhsa_exception_int_div_zero 0
	.end_amdhsa_kernel
	.section	.text._ZN2at6native19triu_indices_kernelIlEEvPT_lllll,"axG",@progbits,_ZN2at6native19triu_indices_kernelIlEEvPT_lllll,comdat
.Lfunc_end3:
	.size	_ZN2at6native19triu_indices_kernelIlEEvPT_lllll, .Lfunc_end3-_ZN2at6native19triu_indices_kernelIlEEvPT_lllll
                                        ; -- End function
	.set _ZN2at6native19triu_indices_kernelIlEEvPT_lllll.num_vgpr, 19
	.set _ZN2at6native19triu_indices_kernelIlEEvPT_lllll.num_agpr, 0
	.set _ZN2at6native19triu_indices_kernelIlEEvPT_lllll.numbered_sgpr, 34
	.set _ZN2at6native19triu_indices_kernelIlEEvPT_lllll.num_named_barrier, 0
	.set _ZN2at6native19triu_indices_kernelIlEEvPT_lllll.private_seg_size, 0
	.set _ZN2at6native19triu_indices_kernelIlEEvPT_lllll.uses_vcc, 1
	.set _ZN2at6native19triu_indices_kernelIlEEvPT_lllll.uses_flat_scratch, 0
	.set _ZN2at6native19triu_indices_kernelIlEEvPT_lllll.has_dyn_sized_stack, 0
	.set _ZN2at6native19triu_indices_kernelIlEEvPT_lllll.has_recursion, 0
	.set _ZN2at6native19triu_indices_kernelIlEEvPT_lllll.has_indirect_call, 0
	.section	.AMDGPU.csdata,"",@progbits
; Kernel info:
; codeLenInByte = 2504
; TotalNumSgprs: 38
; NumVgprs: 19
; ScratchSize: 0
; MemoryBound: 0
; FloatMode: 240
; IeeeMode: 1
; LDSByteSize: 0 bytes/workgroup (compile time only)
; SGPRBlocks: 4
; VGPRBlocks: 4
; NumSGPRsForWavesPerEU: 38
; NumVGPRsForWavesPerEU: 19
; Occupancy: 10
; WaveLimiterHint : 0
; COMPUTE_PGM_RSRC2:SCRATCH_EN: 0
; COMPUTE_PGM_RSRC2:USER_SGPR: 6
; COMPUTE_PGM_RSRC2:TRAP_HANDLER: 0
; COMPUTE_PGM_RSRC2:TGID_X_EN: 1
; COMPUTE_PGM_RSRC2:TGID_Y_EN: 0
; COMPUTE_PGM_RSRC2:TGID_Z_EN: 0
; COMPUTE_PGM_RSRC2:TIDIG_COMP_CNT: 0
	.section	.AMDGPU.gpr_maximums,"",@progbits
	.set amdgpu.max_num_vgpr, 0
	.set amdgpu.max_num_agpr, 0
	.set amdgpu.max_num_sgpr, 0
	.section	.AMDGPU.csdata,"",@progbits
	.type	__hip_cuid_25b0822d80664ce8,@object ; @__hip_cuid_25b0822d80664ce8
	.section	.bss,"aw",@nobits
	.globl	__hip_cuid_25b0822d80664ce8
__hip_cuid_25b0822d80664ce8:
	.byte	0                               ; 0x0
	.size	__hip_cuid_25b0822d80664ce8, 1

	.ident	"AMD clang version 22.0.0git (https://github.com/RadeonOpenCompute/llvm-project roc-7.2.4 26084 f58b06dce1f9c15707c5f808fd002e18c2accf7e)"
	.section	".note.GNU-stack","",@progbits
	.addrsig
	.addrsig_sym __hip_cuid_25b0822d80664ce8
	.amdgpu_metadata
---
amdhsa.kernels:
  - .args:
      - .address_space:  global
        .offset:         0
        .size:           8
        .value_kind:     global_buffer
      - .offset:         8
        .size:           8
        .value_kind:     by_value
      - .offset:         16
        .size:           8
        .value_kind:     by_value
      - .offset:         24
        .size:           8
        .value_kind:     by_value
      - .offset:         32
        .size:           8
        .value_kind:     by_value
      - .offset:         40
        .size:           8
        .value_kind:     by_value
      - .offset:         48
        .size:           4
        .value_kind:     hidden_block_count_x
      - .offset:         52
        .size:           4
        .value_kind:     hidden_block_count_y
      - .offset:         56
        .size:           4
        .value_kind:     hidden_block_count_z
      - .offset:         60
        .size:           2
        .value_kind:     hidden_group_size_x
      - .offset:         62
        .size:           2
        .value_kind:     hidden_group_size_y
      - .offset:         64
        .size:           2
        .value_kind:     hidden_group_size_z
      - .offset:         66
        .size:           2
        .value_kind:     hidden_remainder_x
      - .offset:         68
        .size:           2
        .value_kind:     hidden_remainder_y
      - .offset:         70
        .size:           2
        .value_kind:     hidden_remainder_z
      - .offset:         88
        .size:           8
        .value_kind:     hidden_global_offset_x
      - .offset:         96
        .size:           8
        .value_kind:     hidden_global_offset_y
      - .offset:         104
        .size:           8
        .value_kind:     hidden_global_offset_z
      - .offset:         112
        .size:           2
        .value_kind:     hidden_grid_dims
    .group_segment_fixed_size: 0
    .kernarg_segment_align: 8
    .kernarg_segment_size: 304
    .language:       OpenCL C
    .language_version:
      - 2
      - 0
    .max_flat_workgroup_size: 512
    .name:           _ZN2at6native19tril_indices_kernelIiEEvPT_lllll
    .private_segment_fixed_size: 0
    .sgpr_count:     29
    .sgpr_spill_count: 0
    .symbol:         _ZN2at6native19tril_indices_kernelIiEEvPT_lllll.kd
    .uniform_work_group_size: 1
    .uses_dynamic_stack: false
    .vgpr_count:     17
    .vgpr_spill_count: 0
    .wavefront_size: 64
  - .args:
      - .address_space:  global
        .offset:         0
        .size:           8
        .value_kind:     global_buffer
      - .offset:         8
        .size:           8
        .value_kind:     by_value
      - .offset:         16
        .size:           8
        .value_kind:     by_value
      - .offset:         24
        .size:           8
        .value_kind:     by_value
      - .offset:         32
        .size:           8
        .value_kind:     by_value
      - .offset:         40
        .size:           8
        .value_kind:     by_value
      - .offset:         48
        .size:           4
        .value_kind:     hidden_block_count_x
      - .offset:         52
        .size:           4
        .value_kind:     hidden_block_count_y
      - .offset:         56
        .size:           4
        .value_kind:     hidden_block_count_z
      - .offset:         60
        .size:           2
        .value_kind:     hidden_group_size_x
      - .offset:         62
        .size:           2
        .value_kind:     hidden_group_size_y
      - .offset:         64
        .size:           2
        .value_kind:     hidden_group_size_z
      - .offset:         66
        .size:           2
        .value_kind:     hidden_remainder_x
      - .offset:         68
        .size:           2
        .value_kind:     hidden_remainder_y
      - .offset:         70
        .size:           2
        .value_kind:     hidden_remainder_z
      - .offset:         88
        .size:           8
        .value_kind:     hidden_global_offset_x
      - .offset:         96
        .size:           8
        .value_kind:     hidden_global_offset_y
      - .offset:         104
        .size:           8
        .value_kind:     hidden_global_offset_z
      - .offset:         112
        .size:           2
        .value_kind:     hidden_grid_dims
    .group_segment_fixed_size: 0
    .kernarg_segment_align: 8
    .kernarg_segment_size: 304
    .language:       OpenCL C
    .language_version:
      - 2
      - 0
    .max_flat_workgroup_size: 512
    .name:           _ZN2at6native19tril_indices_kernelIlEEvPT_lllll
    .private_segment_fixed_size: 0
    .sgpr_count:     31
    .sgpr_spill_count: 0
    .symbol:         _ZN2at6native19tril_indices_kernelIlEEvPT_lllll.kd
    .uniform_work_group_size: 1
    .uses_dynamic_stack: false
    .vgpr_count:     19
    .vgpr_spill_count: 0
    .wavefront_size: 64
  - .args:
      - .address_space:  global
        .offset:         0
        .size:           8
        .value_kind:     global_buffer
      - .offset:         8
        .size:           8
        .value_kind:     by_value
      - .offset:         16
        .size:           8
        .value_kind:     by_value
      - .offset:         24
        .size:           8
        .value_kind:     by_value
      - .offset:         32
        .size:           8
        .value_kind:     by_value
      - .offset:         40
        .size:           8
        .value_kind:     by_value
      - .offset:         48
        .size:           4
        .value_kind:     hidden_block_count_x
      - .offset:         52
        .size:           4
        .value_kind:     hidden_block_count_y
      - .offset:         56
        .size:           4
        .value_kind:     hidden_block_count_z
      - .offset:         60
        .size:           2
        .value_kind:     hidden_group_size_x
      - .offset:         62
        .size:           2
        .value_kind:     hidden_group_size_y
      - .offset:         64
        .size:           2
        .value_kind:     hidden_group_size_z
      - .offset:         66
        .size:           2
        .value_kind:     hidden_remainder_x
      - .offset:         68
        .size:           2
        .value_kind:     hidden_remainder_y
      - .offset:         70
        .size:           2
        .value_kind:     hidden_remainder_z
      - .offset:         88
        .size:           8
        .value_kind:     hidden_global_offset_x
      - .offset:         96
        .size:           8
        .value_kind:     hidden_global_offset_y
      - .offset:         104
        .size:           8
        .value_kind:     hidden_global_offset_z
      - .offset:         112
        .size:           2
        .value_kind:     hidden_grid_dims
    .group_segment_fixed_size: 0
    .kernarg_segment_align: 8
    .kernarg_segment_size: 304
    .language:       OpenCL C
    .language_version:
      - 2
      - 0
    .max_flat_workgroup_size: 1024
    .name:           _ZN2at6native19triu_indices_kernelIiEEvPT_lllll
    .private_segment_fixed_size: 0
    .sgpr_count:     36
    .sgpr_spill_count: 0
    .symbol:         _ZN2at6native19triu_indices_kernelIiEEvPT_lllll.kd
    .uniform_work_group_size: 1
    .uses_dynamic_stack: false
    .vgpr_count:     19
    .vgpr_spill_count: 0
    .wavefront_size: 64
  - .args:
      - .address_space:  global
        .offset:         0
        .size:           8
        .value_kind:     global_buffer
      - .offset:         8
        .size:           8
        .value_kind:     by_value
      - .offset:         16
        .size:           8
        .value_kind:     by_value
      - .offset:         24
        .size:           8
        .value_kind:     by_value
      - .offset:         32
        .size:           8
        .value_kind:     by_value
      - .offset:         40
        .size:           8
        .value_kind:     by_value
      - .offset:         48
        .size:           4
        .value_kind:     hidden_block_count_x
      - .offset:         52
        .size:           4
        .value_kind:     hidden_block_count_y
      - .offset:         56
        .size:           4
        .value_kind:     hidden_block_count_z
      - .offset:         60
        .size:           2
        .value_kind:     hidden_group_size_x
      - .offset:         62
        .size:           2
        .value_kind:     hidden_group_size_y
      - .offset:         64
        .size:           2
        .value_kind:     hidden_group_size_z
      - .offset:         66
        .size:           2
        .value_kind:     hidden_remainder_x
      - .offset:         68
        .size:           2
        .value_kind:     hidden_remainder_y
      - .offset:         70
        .size:           2
        .value_kind:     hidden_remainder_z
      - .offset:         88
        .size:           8
        .value_kind:     hidden_global_offset_x
      - .offset:         96
        .size:           8
        .value_kind:     hidden_global_offset_y
      - .offset:         104
        .size:           8
        .value_kind:     hidden_global_offset_z
      - .offset:         112
        .size:           2
        .value_kind:     hidden_grid_dims
    .group_segment_fixed_size: 0
    .kernarg_segment_align: 8
    .kernarg_segment_size: 304
    .language:       OpenCL C
    .language_version:
      - 2
      - 0
    .max_flat_workgroup_size: 1024
    .name:           _ZN2at6native19triu_indices_kernelIlEEvPT_lllll
    .private_segment_fixed_size: 0
    .sgpr_count:     38
    .sgpr_spill_count: 0
    .symbol:         _ZN2at6native19triu_indices_kernelIlEEvPT_lllll.kd
    .uniform_work_group_size: 1
    .uses_dynamic_stack: false
    .vgpr_count:     19
    .vgpr_spill_count: 0
    .wavefront_size: 64
amdhsa.target:   amdgcn-amd-amdhsa--gfx906
amdhsa.version:
  - 1
  - 2
...

	.end_amdgpu_metadata
